;; amdgpu-corpus repo=ROCm/rocFFT kind=compiled arch=gfx1201 opt=O3
	.text
	.amdgcn_target "amdgcn-amd-amdhsa--gfx1201"
	.amdhsa_code_object_version 6
	.protected	fft_rtc_fwd_len1650_factors_11_2_3_5_5_wgs_110_tpt_110_halfLds_sp_ip_CI_sbrr_dirReg ; -- Begin function fft_rtc_fwd_len1650_factors_11_2_3_5_5_wgs_110_tpt_110_halfLds_sp_ip_CI_sbrr_dirReg
	.globl	fft_rtc_fwd_len1650_factors_11_2_3_5_5_wgs_110_tpt_110_halfLds_sp_ip_CI_sbrr_dirReg
	.p2align	8
	.type	fft_rtc_fwd_len1650_factors_11_2_3_5_5_wgs_110_tpt_110_halfLds_sp_ip_CI_sbrr_dirReg,@function
fft_rtc_fwd_len1650_factors_11_2_3_5_5_wgs_110_tpt_110_halfLds_sp_ip_CI_sbrr_dirReg: ; @fft_rtc_fwd_len1650_factors_11_2_3_5_5_wgs_110_tpt_110_halfLds_sp_ip_CI_sbrr_dirReg
; %bb.0:
	s_clause 0x2
	s_load_b64 s[12:13], s[0:1], 0x18
	s_load_b128 s[4:7], s[0:1], 0x0
	s_load_b64 s[10:11], s[0:1], 0x50
	v_mul_u32_u24_e32 v1, 0x254, v0
	v_mov_b32_e32 v3, 0
	s_delay_alu instid0(VALU_DEP_2) | instskip(NEXT) | instid1(VALU_DEP_1)
	v_lshrrev_b32_e32 v1, 16, v1
	v_add_nc_u32_e32 v5, ttmp9, v1
	v_mov_b32_e32 v1, 0
	v_mov_b32_e32 v2, 0
	;; [unrolled: 1-line block ×3, first 2 shown]
	s_wait_kmcnt 0x0
	s_load_b64 s[8:9], s[12:13], 0x0
	v_cmp_lt_u64_e64 s2, s[6:7], 2
	s_delay_alu instid0(VALU_DEP_1)
	s_and_b32 vcc_lo, exec_lo, s2
	s_cbranch_vccnz .LBB0_8
; %bb.1:
	s_load_b64 s[2:3], s[0:1], 0x10
	v_mov_b32_e32 v1, 0
	v_mov_b32_e32 v2, 0
	s_add_nc_u64 s[14:15], s[12:13], 8
	s_mov_b64 s[16:17], 1
	s_wait_kmcnt 0x0
	s_add_nc_u64 s[18:19], s[2:3], 8
	s_mov_b32 s3, 0
.LBB0_2:                                ; =>This Inner Loop Header: Depth=1
	s_load_b64 s[20:21], s[18:19], 0x0
                                        ; implicit-def: $vgpr7_vgpr8
	s_mov_b32 s2, exec_lo
	s_wait_kmcnt 0x0
	v_or_b32_e32 v4, s21, v6
	s_delay_alu instid0(VALU_DEP_1)
	v_cmpx_ne_u64_e32 0, v[3:4]
	s_wait_alu 0xfffe
	s_xor_b32 s22, exec_lo, s2
	s_cbranch_execz .LBB0_4
; %bb.3:                                ;   in Loop: Header=BB0_2 Depth=1
	s_cvt_f32_u32 s2, s20
	s_cvt_f32_u32 s23, s21
	s_sub_nc_u64 s[26:27], 0, s[20:21]
	s_wait_alu 0xfffe
	s_delay_alu instid0(SALU_CYCLE_1) | instskip(SKIP_1) | instid1(SALU_CYCLE_2)
	s_fmamk_f32 s2, s23, 0x4f800000, s2
	s_wait_alu 0xfffe
	v_s_rcp_f32 s2, s2
	s_delay_alu instid0(TRANS32_DEP_1) | instskip(SKIP_1) | instid1(SALU_CYCLE_2)
	s_mul_f32 s2, s2, 0x5f7ffffc
	s_wait_alu 0xfffe
	s_mul_f32 s23, s2, 0x2f800000
	s_wait_alu 0xfffe
	s_delay_alu instid0(SALU_CYCLE_2) | instskip(SKIP_1) | instid1(SALU_CYCLE_2)
	s_trunc_f32 s23, s23
	s_wait_alu 0xfffe
	s_fmamk_f32 s2, s23, 0xcf800000, s2
	s_cvt_u32_f32 s25, s23
	s_wait_alu 0xfffe
	s_delay_alu instid0(SALU_CYCLE_1) | instskip(SKIP_1) | instid1(SALU_CYCLE_2)
	s_cvt_u32_f32 s24, s2
	s_wait_alu 0xfffe
	s_mul_u64 s[28:29], s[26:27], s[24:25]
	s_wait_alu 0xfffe
	s_mul_hi_u32 s31, s24, s29
	s_mul_i32 s30, s24, s29
	s_mul_hi_u32 s2, s24, s28
	s_mul_i32 s33, s25, s28
	s_wait_alu 0xfffe
	s_add_nc_u64 s[30:31], s[2:3], s[30:31]
	s_mul_hi_u32 s23, s25, s28
	s_mul_hi_u32 s34, s25, s29
	s_add_co_u32 s2, s30, s33
	s_wait_alu 0xfffe
	s_add_co_ci_u32 s2, s31, s23
	s_mul_i32 s28, s25, s29
	s_add_co_ci_u32 s29, s34, 0
	s_wait_alu 0xfffe
	s_add_nc_u64 s[28:29], s[2:3], s[28:29]
	s_wait_alu 0xfffe
	v_add_co_u32 v4, s2, s24, s28
	s_delay_alu instid0(VALU_DEP_1) | instskip(SKIP_1) | instid1(VALU_DEP_1)
	s_cmp_lg_u32 s2, 0
	s_add_co_ci_u32 s25, s25, s29
	v_readfirstlane_b32 s24, v4
	s_wait_alu 0xfffe
	s_delay_alu instid0(VALU_DEP_1)
	s_mul_u64 s[26:27], s[26:27], s[24:25]
	s_wait_alu 0xfffe
	s_mul_hi_u32 s29, s24, s27
	s_mul_i32 s28, s24, s27
	s_mul_hi_u32 s2, s24, s26
	s_mul_i32 s30, s25, s26
	s_wait_alu 0xfffe
	s_add_nc_u64 s[28:29], s[2:3], s[28:29]
	s_mul_hi_u32 s23, s25, s26
	s_mul_hi_u32 s24, s25, s27
	s_wait_alu 0xfffe
	s_add_co_u32 s2, s28, s30
	s_add_co_ci_u32 s2, s29, s23
	s_mul_i32 s26, s25, s27
	s_add_co_ci_u32 s27, s24, 0
	s_wait_alu 0xfffe
	s_add_nc_u64 s[26:27], s[2:3], s[26:27]
	s_wait_alu 0xfffe
	v_add_co_u32 v4, s2, v4, s26
	s_delay_alu instid0(VALU_DEP_1) | instskip(SKIP_1) | instid1(VALU_DEP_1)
	s_cmp_lg_u32 s2, 0
	s_add_co_ci_u32 s2, s25, s27
	v_mul_hi_u32 v13, v5, v4
	s_wait_alu 0xfffe
	v_mad_co_u64_u32 v[7:8], null, v5, s2, 0
	v_mad_co_u64_u32 v[9:10], null, v6, v4, 0
	;; [unrolled: 1-line block ×3, first 2 shown]
	s_delay_alu instid0(VALU_DEP_3) | instskip(SKIP_1) | instid1(VALU_DEP_4)
	v_add_co_u32 v4, vcc_lo, v13, v7
	s_wait_alu 0xfffd
	v_add_co_ci_u32_e32 v7, vcc_lo, 0, v8, vcc_lo
	s_delay_alu instid0(VALU_DEP_2) | instskip(SKIP_1) | instid1(VALU_DEP_2)
	v_add_co_u32 v4, vcc_lo, v4, v9
	s_wait_alu 0xfffd
	v_add_co_ci_u32_e32 v4, vcc_lo, v7, v10, vcc_lo
	s_wait_alu 0xfffd
	v_add_co_ci_u32_e32 v7, vcc_lo, 0, v12, vcc_lo
	s_delay_alu instid0(VALU_DEP_2) | instskip(SKIP_1) | instid1(VALU_DEP_2)
	v_add_co_u32 v4, vcc_lo, v4, v11
	s_wait_alu 0xfffd
	v_add_co_ci_u32_e32 v9, vcc_lo, 0, v7, vcc_lo
	s_delay_alu instid0(VALU_DEP_2) | instskip(SKIP_1) | instid1(VALU_DEP_3)
	v_mul_lo_u32 v10, s21, v4
	v_mad_co_u64_u32 v[7:8], null, s20, v4, 0
	v_mul_lo_u32 v11, s20, v9
	s_delay_alu instid0(VALU_DEP_2) | instskip(NEXT) | instid1(VALU_DEP_2)
	v_sub_co_u32 v7, vcc_lo, v5, v7
	v_add3_u32 v8, v8, v11, v10
	s_delay_alu instid0(VALU_DEP_1) | instskip(SKIP_1) | instid1(VALU_DEP_1)
	v_sub_nc_u32_e32 v10, v6, v8
	s_wait_alu 0xfffd
	v_subrev_co_ci_u32_e64 v10, s2, s21, v10, vcc_lo
	v_add_co_u32 v11, s2, v4, 2
	s_wait_alu 0xf1ff
	v_add_co_ci_u32_e64 v12, s2, 0, v9, s2
	v_sub_co_u32 v13, s2, v7, s20
	v_sub_co_ci_u32_e32 v8, vcc_lo, v6, v8, vcc_lo
	s_wait_alu 0xf1ff
	v_subrev_co_ci_u32_e64 v10, s2, 0, v10, s2
	s_delay_alu instid0(VALU_DEP_3) | instskip(NEXT) | instid1(VALU_DEP_3)
	v_cmp_le_u32_e32 vcc_lo, s20, v13
	v_cmp_eq_u32_e64 s2, s21, v8
	s_wait_alu 0xfffd
	v_cndmask_b32_e64 v13, 0, -1, vcc_lo
	v_cmp_le_u32_e32 vcc_lo, s21, v10
	s_wait_alu 0xfffd
	v_cndmask_b32_e64 v14, 0, -1, vcc_lo
	v_cmp_le_u32_e32 vcc_lo, s20, v7
	;; [unrolled: 3-line block ×3, first 2 shown]
	s_wait_alu 0xfffd
	v_cndmask_b32_e64 v15, 0, -1, vcc_lo
	v_cmp_eq_u32_e32 vcc_lo, s21, v10
	s_wait_alu 0xf1ff
	s_delay_alu instid0(VALU_DEP_2)
	v_cndmask_b32_e64 v7, v15, v7, s2
	s_wait_alu 0xfffd
	v_cndmask_b32_e32 v10, v14, v13, vcc_lo
	v_add_co_u32 v13, vcc_lo, v4, 1
	s_wait_alu 0xfffd
	v_add_co_ci_u32_e32 v14, vcc_lo, 0, v9, vcc_lo
	s_delay_alu instid0(VALU_DEP_3) | instskip(SKIP_2) | instid1(VALU_DEP_3)
	v_cmp_ne_u32_e32 vcc_lo, 0, v10
	s_wait_alu 0xfffd
	v_cndmask_b32_e32 v10, v13, v11, vcc_lo
	v_cndmask_b32_e32 v8, v14, v12, vcc_lo
	v_cmp_ne_u32_e32 vcc_lo, 0, v7
	s_wait_alu 0xfffd
	s_delay_alu instid0(VALU_DEP_2)
	v_dual_cndmask_b32 v7, v4, v10 :: v_dual_cndmask_b32 v8, v9, v8
.LBB0_4:                                ;   in Loop: Header=BB0_2 Depth=1
	s_wait_alu 0xfffe
	s_and_not1_saveexec_b32 s2, s22
	s_cbranch_execz .LBB0_6
; %bb.5:                                ;   in Loop: Header=BB0_2 Depth=1
	v_cvt_f32_u32_e32 v4, s20
	s_sub_co_i32 s22, 0, s20
	s_delay_alu instid0(VALU_DEP_1) | instskip(NEXT) | instid1(TRANS32_DEP_1)
	v_rcp_iflag_f32_e32 v4, v4
	v_mul_f32_e32 v4, 0x4f7ffffe, v4
	s_delay_alu instid0(VALU_DEP_1) | instskip(SKIP_1) | instid1(VALU_DEP_1)
	v_cvt_u32_f32_e32 v4, v4
	s_wait_alu 0xfffe
	v_mul_lo_u32 v7, s22, v4
	s_delay_alu instid0(VALU_DEP_1) | instskip(NEXT) | instid1(VALU_DEP_1)
	v_mul_hi_u32 v7, v4, v7
	v_add_nc_u32_e32 v4, v4, v7
	s_delay_alu instid0(VALU_DEP_1) | instskip(NEXT) | instid1(VALU_DEP_1)
	v_mul_hi_u32 v4, v5, v4
	v_mul_lo_u32 v7, v4, s20
	v_add_nc_u32_e32 v8, 1, v4
	s_delay_alu instid0(VALU_DEP_2) | instskip(NEXT) | instid1(VALU_DEP_1)
	v_sub_nc_u32_e32 v7, v5, v7
	v_subrev_nc_u32_e32 v9, s20, v7
	v_cmp_le_u32_e32 vcc_lo, s20, v7
	s_wait_alu 0xfffd
	s_delay_alu instid0(VALU_DEP_2) | instskip(NEXT) | instid1(VALU_DEP_1)
	v_dual_cndmask_b32 v7, v7, v9 :: v_dual_cndmask_b32 v4, v4, v8
	v_cmp_le_u32_e32 vcc_lo, s20, v7
	s_delay_alu instid0(VALU_DEP_2) | instskip(SKIP_1) | instid1(VALU_DEP_1)
	v_add_nc_u32_e32 v8, 1, v4
	s_wait_alu 0xfffd
	v_dual_cndmask_b32 v7, v4, v8 :: v_dual_mov_b32 v8, v3
.LBB0_6:                                ;   in Loop: Header=BB0_2 Depth=1
	s_wait_alu 0xfffe
	s_or_b32 exec_lo, exec_lo, s2
	s_load_b64 s[22:23], s[14:15], 0x0
	s_delay_alu instid0(VALU_DEP_1)
	v_mul_lo_u32 v4, v8, s20
	v_mul_lo_u32 v11, v7, s21
	v_mad_co_u64_u32 v[9:10], null, v7, s20, 0
	s_add_nc_u64 s[16:17], s[16:17], 1
	s_add_nc_u64 s[14:15], s[14:15], 8
	s_wait_alu 0xfffe
	v_cmp_ge_u64_e64 s2, s[16:17], s[6:7]
	s_add_nc_u64 s[18:19], s[18:19], 8
	s_delay_alu instid0(VALU_DEP_2) | instskip(NEXT) | instid1(VALU_DEP_3)
	v_add3_u32 v4, v10, v11, v4
	v_sub_co_u32 v5, vcc_lo, v5, v9
	s_wait_alu 0xfffd
	s_delay_alu instid0(VALU_DEP_2) | instskip(SKIP_3) | instid1(VALU_DEP_2)
	v_sub_co_ci_u32_e32 v4, vcc_lo, v6, v4, vcc_lo
	s_and_b32 vcc_lo, exec_lo, s2
	s_wait_kmcnt 0x0
	v_mul_lo_u32 v6, s23, v5
	v_mul_lo_u32 v4, s22, v4
	v_mad_co_u64_u32 v[1:2], null, s22, v5, v[1:2]
	s_delay_alu instid0(VALU_DEP_1)
	v_add3_u32 v2, v6, v2, v4
	s_wait_alu 0xfffe
	s_cbranch_vccnz .LBB0_9
; %bb.7:                                ;   in Loop: Header=BB0_2 Depth=1
	v_dual_mov_b32 v5, v7 :: v_dual_mov_b32 v6, v8
	s_branch .LBB0_2
.LBB0_8:
	v_dual_mov_b32 v8, v6 :: v_dual_mov_b32 v7, v5
.LBB0_9:
	s_lshl_b64 s[2:3], s[6:7], 3
	v_mul_hi_u32 v3, 0x253c826, v0
	s_wait_alu 0xfffe
	s_add_nc_u64 s[2:3], s[12:13], s[2:3]
                                        ; implicit-def: $vgpr15
                                        ; implicit-def: $vgpr39
                                        ; implicit-def: $vgpr27
                                        ; implicit-def: $vgpr19
                                        ; implicit-def: $vgpr9
                                        ; implicit-def: $vgpr37
                                        ; implicit-def: $vgpr43
                                        ; implicit-def: $vgpr17
                                        ; implicit-def: $vgpr13
                                        ; implicit-def: $vgpr11
                                        ; implicit-def: $vgpr41
                                        ; implicit-def: $vgpr33
                                        ; implicit-def: $vgpr21
                                        ; implicit-def: $vgpr23
                                        ; implicit-def: $vgpr25
                                        ; implicit-def: $vgpr31
                                        ; implicit-def: $vgpr35
                                        ; implicit-def: $vgpr45
                                        ; implicit-def: $vgpr29
	s_load_b64 s[2:3], s[2:3], 0x0
	s_load_b64 s[0:1], s[0:1], 0x20
	s_delay_alu instid0(VALU_DEP_1) | instskip(NEXT) | instid1(VALU_DEP_1)
	v_mul_u32_u24_e32 v3, 0x6e, v3
	v_sub_nc_u32_e32 v60, v0, v3
	v_mov_b32_e32 v3, 0
	s_wait_kmcnt 0x0
	v_mul_lo_u32 v4, s2, v8
	v_mul_lo_u32 v5, s3, v7
	v_mad_co_u64_u32 v[1:2], null, s2, v7, v[1:2]
	v_cmp_gt_u64_e32 vcc_lo, s[0:1], v[7:8]
                                        ; implicit-def: $vgpr7
	s_delay_alu instid0(VALU_DEP_2) | instskip(NEXT) | instid1(VALU_DEP_1)
	v_add3_u32 v2, v5, v2, v4
                                        ; implicit-def: $vgpr5
	v_lshlrev_b64_e32 v[0:1], 3, v[1:2]
	v_mov_b32_e32 v2, 0
	s_and_saveexec_b32 s1, vcc_lo
	s_cbranch_execz .LBB0_13
; %bb.10:
	v_add_nc_u32_e32 v10, 0x96, v60
	v_mad_co_u64_u32 v[2:3], null, s8, v60, 0
	v_add_nc_u32_e32 v12, 0x12c, v60
	v_add_nc_u32_e32 v13, 0x1c2, v60
	s_delay_alu instid0(VALU_DEP_4) | instskip(SKIP_1) | instid1(VALU_DEP_4)
	v_mad_co_u64_u32 v[4:5], null, s8, v10, 0
	v_add_co_u32 v21, s0, s10, v0
	v_mad_co_u64_u32 v[6:7], null, s8, v12, 0
	s_wait_alu 0xf1ff
	v_add_co_ci_u32_e64 v23, s0, s11, v1, s0
	s_delay_alu instid0(VALU_DEP_4) | instskip(SKIP_4) | instid1(VALU_DEP_4)
	v_mad_co_u64_u32 v[8:9], null, s9, v60, v[3:4]
	v_add_nc_u32_e32 v20, 0x41a, v60
	v_add_nc_u32_e32 v22, 0x4b0, v60
	;; [unrolled: 1-line block ×3, first 2 shown]
	s_mov_b32 s2, exec_lo
                                        ; implicit-def: $vgpr34
                                        ; implicit-def: $vgpr40
	v_mov_b32_e32 v3, v8
	v_mad_co_u64_u32 v[9:10], null, s9, v10, v[5:6]
	v_mad_co_u64_u32 v[10:11], null, s8, v13, 0
	s_delay_alu instid0(VALU_DEP_3) | instskip(NEXT) | instid1(VALU_DEP_3)
	v_lshlrev_b64_e32 v[2:3], 3, v[2:3]
	v_mov_b32_e32 v5, v9
	v_mad_co_u64_u32 v[7:8], null, s9, v12, v[7:8]
	s_delay_alu instid0(VALU_DEP_4) | instskip(NEXT) | instid1(VALU_DEP_4)
	v_mov_b32_e32 v8, v11
	v_add_co_u32 v2, s0, v21, v2
	s_delay_alu instid0(VALU_DEP_4)
	v_lshlrev_b64_e32 v[4:5], 3, v[4:5]
	s_wait_alu 0xf1ff
	v_add_co_ci_u32_e64 v3, s0, v23, v3, s0
	v_mad_co_u64_u32 v[8:9], null, s9, v13, v[8:9]
	v_add_nc_u32_e32 v14, 0x258, v60
	v_lshlrev_b64_e32 v[6:7], 3, v[6:7]
	v_add_co_u32 v4, s0, v21, v4
	s_wait_alu 0xf1ff
	v_add_co_ci_u32_e64 v5, s0, v23, v5, s0
	v_mov_b32_e32 v11, v8
	v_mad_co_u64_u32 v[12:13], null, s8, v14, 0
	v_add_nc_u32_e32 v15, 0x2ee, v60
	v_add_co_u32 v6, s0, v21, v6
	s_delay_alu instid0(VALU_DEP_4)
	v_lshlrev_b64_e32 v[9:10], 3, v[10:11]
	s_wait_alu 0xf1ff
	v_add_co_ci_u32_e64 v7, s0, v23, v7, s0
	v_mov_b32_e32 v8, v13
	v_mad_co_u64_u32 v[16:17], null, s8, v15, 0
	v_add_nc_u32_e32 v11, 0x384, v60
	s_delay_alu instid0(VALU_DEP_3) | instskip(SKIP_1) | instid1(VALU_DEP_4)
	v_mad_co_u64_u32 v[13:14], null, s9, v14, v[8:9]
	v_add_co_u32 v9, s0, v21, v9
	v_mov_b32_e32 v8, v17
	s_wait_alu 0xf1ff
	v_add_co_ci_u32_e64 v10, s0, v23, v10, s0
	s_delay_alu instid0(VALU_DEP_2)
	v_mad_co_u64_u32 v[17:18], null, s9, v15, v[8:9]
	v_mad_co_u64_u32 v[18:19], null, s8, v11, 0
	s_clause 0x3
	global_load_b64 v[14:15], v[2:3], off
	global_load_b64 v[38:39], v[4:5], off
	;; [unrolled: 1-line block ×4, first 2 shown]
	v_mad_co_u64_u32 v[7:8], null, s8, v20, 0
	v_lshlrev_b64_e32 v[2:3], 3, v[12:13]
	v_lshlrev_b64_e32 v[12:13], 3, v[16:17]
	v_mad_co_u64_u32 v[16:17], null, s8, v30, 0
	v_mov_b32_e32 v6, v19
	s_delay_alu instid0(VALU_DEP_4) | instskip(SKIP_2) | instid1(VALU_DEP_3)
	v_add_co_u32 v2, s0, v21, v2
	s_wait_alu 0xf1ff
	v_add_co_ci_u32_e64 v3, s0, v23, v3, s0
	v_mad_co_u64_u32 v[9:10], null, s9, v11, v[6:7]
	v_mad_co_u64_u32 v[10:11], null, s8, v22, 0
	v_mov_b32_e32 v6, v8
	v_add_co_u32 v12, s0, v21, v12
	s_wait_alu 0xf1ff
	v_add_co_ci_u32_e64 v13, s0, v23, v13, s0
	v_mov_b32_e32 v19, v9
	v_mad_co_u64_u32 v[8:9], null, s9, v20, v[6:7]
	v_dual_mov_b32 v6, v11 :: v_dual_add_nc_u32 v9, 0x5dc, v60
	s_delay_alu instid0(VALU_DEP_1) | instskip(NEXT) | instid1(VALU_DEP_2)
	v_mad_co_u64_u32 v[24:25], null, s9, v22, v[6:7]
	v_mad_co_u64_u32 v[28:29], null, s8, v9, 0
	v_mov_b32_e32 v6, v17
	v_lshlrev_b64_e32 v[17:18], 3, v[18:19]
                                        ; implicit-def: $vgpr22
	s_delay_alu instid0(VALU_DEP_4) | instskip(NEXT) | instid1(VALU_DEP_3)
	v_mov_b32_e32 v11, v24
	v_mad_co_u64_u32 v[19:20], null, s9, v30, v[6:7]
	v_lshlrev_b64_e32 v[7:8], 3, v[7:8]
	v_mov_b32_e32 v6, v29
	v_add_co_u32 v24, s0, v21, v17
	s_wait_alu 0xf1ff
	v_add_co_ci_u32_e64 v25, s0, v23, v18, s0
	v_mov_b32_e32 v17, v19
	v_mad_co_u64_u32 v[29:30], null, s9, v9, v[6:7]
	v_lshlrev_b64_e32 v[9:10], 3, v[10:11]
	v_add_co_u32 v30, s0, v21, v7
	s_delay_alu instid0(VALU_DEP_4) | instskip(SKIP_2) | instid1(VALU_DEP_4)
	v_lshlrev_b64_e32 v[6:7], 3, v[16:17]
	s_wait_alu 0xf1ff
	v_add_co_ci_u32_e64 v31, s0, v23, v8, s0
	v_add_co_u32 v16, s0, v21, v9
	v_lshlrev_b64_e32 v[8:9], 3, v[28:29]
	s_wait_alu 0xf1ff
	v_add_co_ci_u32_e64 v17, s0, v23, v10, s0
	v_add_co_u32 v10, s0, v21, v6
	s_wait_alu 0xf1ff
	v_add_co_ci_u32_e64 v11, s0, v23, v7, s0
	v_add_co_u32 v32, s0, v21, v8
	s_wait_alu 0xf1ff
	v_add_co_ci_u32_e64 v33, s0, v23, v9, s0
	s_clause 0x6
	global_load_b64 v[18:19], v[2:3], off
	global_load_b64 v[6:7], v[12:13], off
	;; [unrolled: 1-line block ×7, first 2 shown]
	v_dual_mov_b32 v2, 0 :: v_dual_mov_b32 v3, 0
                                        ; implicit-def: $vgpr30
                                        ; implicit-def: $vgpr24
                                        ; implicit-def: $vgpr20
                                        ; implicit-def: $vgpr32
                                        ; implicit-def: $vgpr10
                                        ; implicit-def: $vgpr12
                                        ; implicit-def: $vgpr16
	v_cmpx_gt_u32_e32 40, v60
	s_cbranch_execz .LBB0_12
; %bb.11:
	v_add_nc_u32_e32 v34, 0x230, v60
	v_add_nc_u32_e32 v48, 0x51e, v60
	;; [unrolled: 1-line block ×3, first 2 shown]
	s_delay_alu instid0(VALU_DEP_3) | instskip(SKIP_1) | instid1(VALU_DEP_1)
	v_mad_co_u64_u32 v[24:25], null, s8, v34, 0
	v_add_nc_u32_e32 v22, 0x19a, v60
	v_mad_co_u64_u32 v[12:13], null, s8, v22, 0
	v_add_nc_u32_e32 v16, 0x6e, v60
	s_delay_alu instid0(VALU_DEP_1) | instskip(SKIP_1) | instid1(VALU_DEP_1)
	v_mad_co_u64_u32 v[2:3], null, s8, v16, 0
	s_wait_loadcnt 0x7
	v_mad_co_u64_u32 v[16:17], null, s9, v16, v[3:4]
	s_delay_alu instid0(VALU_DEP_4) | instskip(SKIP_1) | instid1(VALU_DEP_2)
	v_dual_mov_b32 v3, v13 :: v_dual_add_nc_u32 v20, 0x104, v60
	v_mov_b32_e32 v13, v25
	v_mad_co_u64_u32 v[10:11], null, s8, v20, 0
	s_delay_alu instid0(VALU_DEP_1) | instskip(NEXT) | instid1(VALU_DEP_4)
	v_mad_co_u64_u32 v[30:31], null, s9, v20, v[11:12]
	v_mad_co_u64_u32 v[31:32], null, s9, v22, v[3:4]
	v_dual_mov_b32 v3, v16 :: v_dual_add_nc_u32 v20, 0x2c6, v60
	s_delay_alu instid0(VALU_DEP_3) | instskip(SKIP_1) | instid1(VALU_DEP_4)
	v_mov_b32_e32 v11, v30
	v_mad_co_u64_u32 v[16:17], null, s9, v34, v[13:14]
	v_mov_b32_e32 v13, v31
	s_delay_alu instid0(VALU_DEP_4)
	v_mad_co_u64_u32 v[32:33], null, s8, v20, 0
	v_add_nc_u32_e32 v22, 0x35c, v60
	v_lshlrev_b64_e32 v[2:3], 3, v[2:3]
	v_lshlrev_b64_e32 v[10:11], 3, v[10:11]
	v_mov_b32_e32 v25, v16
	v_lshlrev_b64_e32 v[12:13], 3, v[12:13]
	v_mad_co_u64_u32 v[30:31], null, s8, v22, 0
	v_mov_b32_e32 v16, v33
	v_add_co_u32 v2, s0, v21, v2
	s_wait_alu 0xf1ff
	v_add_co_ci_u32_e64 v3, s0, v23, v3, s0
	s_delay_alu instid0(VALU_DEP_3)
	v_mad_co_u64_u32 v[16:17], null, s9, v20, v[16:17]
	v_dual_mov_b32 v17, v31 :: v_dual_add_nc_u32 v46, 0x3f2, v60
	v_add_co_u32 v10, s0, v21, v10
	v_lshlrev_b64_e32 v[24:25], 3, v[24:25]
	s_wait_alu 0xf1ff
	v_add_co_ci_u32_e64 v11, s0, v23, v11, s0
	v_mov_b32_e32 v33, v16
	s_wait_loadcnt 0x6
	v_mad_co_u64_u32 v[34:35], null, s9, v22, v[17:18]
	v_mad_co_u64_u32 v[40:41], null, s8, v46, 0
	v_add_co_u32 v12, s0, v21, v12
	s_wait_alu 0xf1ff
	v_add_co_ci_u32_e64 v13, s0, v23, v13, s0
	s_delay_alu instid0(VALU_DEP_4)
	v_dual_mov_b32 v31, v34 :: v_dual_add_nc_u32 v22, 0x488, v60
	v_add_co_u32 v24, s0, v21, v24
	s_wait_alu 0xf1ff
	v_add_co_ci_u32_e64 v25, s0, v23, v25, s0
	s_clause 0x3
	global_load_b64 v[2:3], v[2:3], off
	global_load_b64 v[16:17], v[10:11], off
	;; [unrolled: 1-line block ×4, first 2 shown]
	v_lshlrev_b64_e32 v[24:25], 3, v[32:33]
	v_mov_b32_e32 v20, v41
	v_mad_co_u64_u32 v[32:33], null, s8, v22, 0
	v_lshlrev_b64_e32 v[30:31], 3, v[30:31]
	s_delay_alu instid0(VALU_DEP_3) | instskip(SKIP_1) | instid1(VALU_DEP_4)
	v_mad_co_u64_u32 v[34:35], null, s9, v46, v[20:21]
	v_mad_co_u64_u32 v[46:47], null, s8, v48, 0
	v_mov_b32_e32 v20, v33
	v_add_co_u32 v24, s0, v21, v24
	s_wait_alu 0xf1ff
	v_add_co_ci_u32_e64 v25, s0, v23, v25, s0
	v_mov_b32_e32 v41, v34
	v_mad_co_u64_u32 v[33:34], null, s9, v22, v[20:21]
	v_mov_b32_e32 v20, v47
	v_add_nc_u32_e32 v22, 0x64a, v60
	v_mad_co_u64_u32 v[34:35], null, s8, v50, 0
	v_lshlrev_b64_e32 v[40:41], 3, v[40:41]
	s_delay_alu instid0(VALU_DEP_4) | instskip(NEXT) | instid1(VALU_DEP_4)
	v_mad_co_u64_u32 v[47:48], null, s9, v48, v[20:21]
	v_mad_co_u64_u32 v[48:49], null, s8, v22, 0
	v_add_co_u32 v30, s0, v21, v30
	v_mov_b32_e32 v20, v35
	s_wait_alu 0xf1ff
	v_add_co_ci_u32_e64 v31, s0, v23, v31, s0
	v_lshlrev_b64_e32 v[32:33], 3, v[32:33]
	v_lshlrev_b64_e32 v[46:47], 3, v[46:47]
	v_mad_co_u64_u32 v[50:51], null, s9, v50, v[20:21]
	v_mov_b32_e32 v20, v49
	v_add_co_u32 v51, s0, v21, v40
	s_wait_alu 0xf1ff
	v_add_co_ci_u32_e64 v52, s0, v23, v41, s0
	s_delay_alu instid0(VALU_DEP_3) | instskip(SKIP_4) | instid1(VALU_DEP_3)
	v_mad_co_u64_u32 v[40:41], null, s9, v22, v[20:21]
	v_mov_b32_e32 v35, v50
	v_add_co_u32 v53, s0, v21, v32
	s_wait_alu 0xf1ff
	v_add_co_ci_u32_e64 v54, s0, v23, v33, s0
	v_lshlrev_b64_e32 v[32:33], 3, v[34:35]
	v_mov_b32_e32 v49, v40
	v_add_co_u32 v46, s0, v21, v46
	s_wait_alu 0xf1ff
	v_add_co_ci_u32_e64 v47, s0, v23, v47, s0
	s_delay_alu instid0(VALU_DEP_3) | instskip(SKIP_3) | instid1(VALU_DEP_3)
	v_lshlrev_b64_e32 v[34:35], 3, v[48:49]
	v_add_co_u32 v48, s0, v21, v32
	s_wait_alu 0xf1ff
	v_add_co_ci_u32_e64 v49, s0, v23, v33, s0
	v_add_co_u32 v20, s0, v21, v34
	s_wait_alu 0xf1ff
	v_add_co_ci_u32_e64 v21, s0, v23, v35, s0
	s_clause 0x6
	global_load_b64 v[40:41], v[24:25], off
	global_load_b64 v[32:33], v[30:31], off
	;; [unrolled: 1-line block ×7, first 2 shown]
.LBB0_12:
	s_wait_alu 0xfffe
	s_or_b32 exec_lo, exec_lo, s2
.LBB0_13:
	s_wait_alu 0xfffe
	s_or_b32 exec_lo, exec_lo, s1
	s_wait_loadcnt 0x0
	v_dual_add_f32 v47, v38, v42 :: v_dual_sub_f32 v48, v39, v43
	v_add_f32_e32 v46, v14, v38
	v_dual_add_f32 v49, v44, v26 :: v_dual_sub_f32 v50, v27, v45
	s_delay_alu instid0(VALU_DEP_3) | instskip(NEXT) | instid1(VALU_DEP_3)
	v_mul_f32_e32 v51, 0x3f575c64, v47
	v_dual_mul_f32 v53, 0xbe11bafb, v47 :: v_dual_add_f32 v46, v46, v26
	s_delay_alu instid0(VALU_DEP_3) | instskip(SKIP_1) | instid1(VALU_DEP_3)
	v_dual_mul_f32 v52, 0x3ed4b147, v47 :: v_dual_mul_f32 v55, 0x3ed4b147, v49
	v_cmp_gt_u32_e64 s1, 40, v60
	v_dual_fmamk_f32 v61, v48, 0x3f7d64f0, v53 :: v_dual_add_f32 v46, v46, v4
	v_fmamk_f32 v58, v48, 0x3f0a6770, v51
	v_fmac_f32_e32 v51, 0xbf0a6770, v48
	v_mul_f32_e32 v54, 0xbf27a4f4, v47
	v_mul_f32_e32 v47, 0xbf75a155, v47
	v_dual_mul_f32 v57, 0xbf75a155, v49 :: v_dual_add_f32 v46, v46, v18
	s_delay_alu instid0(VALU_DEP_1) | instskip(SKIP_1) | instid1(VALU_DEP_2)
	v_dual_add_f32 v46, v46, v6 :: v_dual_fmamk_f32 v59, v48, 0x3f68dda4, v52
	v_dual_fmac_f32 v52, 0xbf68dda4, v48 :: v_dual_add_f32 v51, v51, v14
	v_add_f32_e32 v46, v46, v8
	s_delay_alu instid0(VALU_DEP_3) | instskip(NEXT) | instid1(VALU_DEP_2)
	v_dual_mul_f32 v56, 0xbf27a4f4, v49 :: v_dual_add_f32 v59, v59, v14
	v_dual_add_f32 v46, v46, v28 :: v_dual_fmamk_f32 v63, v48, 0x3e903f40, v47
	v_fmac_f32_e32 v47, 0xbe903f40, v48
	v_add_f32_e32 v61, v61, v14
	v_dual_fmac_f32 v53, 0xbf7d64f0, v48 :: v_dual_add_f32 v58, v58, v14
	s_delay_alu instid0(VALU_DEP_4)
	v_add_f32_e32 v46, v46, v36
	v_fmamk_f32 v62, v48, 0x3f4178ce, v54
	v_dual_fmac_f32 v54, 0xbf4178ce, v48 :: v_dual_add_f32 v63, v63, v14
	v_fmamk_f32 v64, v50, 0x3f4178ce, v56
	v_fmamk_f32 v48, v50, 0x3f68dda4, v55
	v_fmac_f32_e32 v55, 0xbf68dda4, v50
	v_add_f32_e32 v46, v44, v46
	v_add_f32_e32 v52, v52, v14
	v_fmac_f32_e32 v56, 0xbf4178ce, v50
	v_add_f32_e32 v53, v53, v14
	v_add_f32_e32 v62, v62, v14
	v_dual_add_f32 v69, v46, v42 :: v_dual_add_f32 v46, v51, v55
	v_fmamk_f32 v51, v50, 0xbe903f40, v57
	v_fmac_f32_e32 v57, 0x3e903f40, v50
	v_add_f32_e32 v54, v54, v14
	s_delay_alu instid0(VALU_DEP_3) | instskip(SKIP_4) | instid1(VALU_DEP_3)
	v_dual_add_f32 v14, v47, v14 :: v_dual_add_f32 v51, v61, v51
	v_add_f32_e32 v55, v59, v64
	v_dual_add_f32 v47, v58, v48 :: v_dual_mul_f32 v48, 0xbe11bafb, v49
	v_dual_sub_f32 v59, v5, v37 :: v_dual_add_f32 v52, v52, v56
	v_mul_f32_e32 v49, 0x3f575c64, v49
	v_fmamk_f32 v56, v50, 0xbf7d64f0, v48
	v_fmac_f32_e32 v48, 0x3f7d64f0, v50
	s_delay_alu instid0(VALU_DEP_2) | instskip(SKIP_1) | instid1(VALU_DEP_3)
	v_dual_add_f32 v56, v62, v56 :: v_dual_add_f32 v53, v53, v57
	v_add_f32_e32 v57, v4, v36
	v_add_f32_e32 v48, v54, v48
	v_fmamk_f32 v58, v50, 0xbf0a6770, v49
	s_delay_alu instid0(VALU_DEP_3) | instskip(SKIP_1) | instid1(VALU_DEP_1)
	v_mul_f32_e32 v61, 0xbe11bafb, v57
	v_mul_f32_e32 v54, 0xbf75a155, v57
	v_fmamk_f32 v62, v59, 0xbe903f40, v54
	v_fmac_f32_e32 v54, 0x3e903f40, v59
	v_fmac_f32_e32 v49, 0x3f0a6770, v50
	v_add_f32_e32 v50, v63, v58
	v_fmamk_f32 v58, v59, 0x3f7d64f0, v61
	s_delay_alu instid0(VALU_DEP_4) | instskip(NEXT) | instid1(VALU_DEP_4)
	v_dual_fmac_f32 v61, 0xbf7d64f0, v59 :: v_dual_add_f32 v52, v54, v52
	v_add_f32_e32 v14, v14, v49
	v_mul_f32_e32 v49, 0x3ed4b147, v57
	s_delay_alu instid0(VALU_DEP_3) | instskip(NEXT) | instid1(VALU_DEP_2)
	v_dual_add_f32 v47, v58, v47 :: v_dual_add_f32 v46, v61, v46
	v_dual_add_f32 v55, v62, v55 :: v_dual_fmamk_f32 v58, v59, 0xbf68dda4, v49
	v_fmac_f32_e32 v49, 0x3f68dda4, v59
	s_delay_alu instid0(VALU_DEP_2) | instskip(SKIP_1) | instid1(VALU_DEP_3)
	v_dual_add_f32 v51, v58, v51 :: v_dual_mul_f32 v54, 0x3f575c64, v57
	v_mul_f32_e32 v57, 0xbf27a4f4, v57
	v_add_f32_e32 v49, v49, v53
	v_dual_add_f32 v53, v28, v18 :: v_dual_sub_f32 v62, v19, v29
	s_delay_alu instid0(VALU_DEP_3) | instskip(SKIP_1) | instid1(VALU_DEP_1)
	v_fmamk_f32 v61, v59, 0x3f4178ce, v57
	v_fmac_f32_e32 v57, 0xbf4178ce, v59
	v_dual_add_f32 v14, v57, v14 :: v_dual_mul_f32 v57, 0x3f575c64, v53
	v_fmamk_f32 v58, v59, 0x3f0a6770, v54
	v_fmac_f32_e32 v54, 0xbf0a6770, v59
	s_delay_alu instid0(VALU_DEP_3) | instskip(SKIP_1) | instid1(VALU_DEP_3)
	v_fmamk_f32 v59, v62, 0x3f0a6770, v57
	v_fmac_f32_e32 v57, 0xbf0a6770, v62
	v_dual_mul_f32 v63, 0xbf27a4f4, v53 :: v_dual_add_f32 v48, v54, v48
	v_add_f32_e32 v56, v58, v56
	s_delay_alu instid0(VALU_DEP_4) | instskip(NEXT) | instid1(VALU_DEP_3)
	v_dual_add_f32 v50, v61, v50 :: v_dual_add_f32 v51, v51, v59
	v_fmamk_f32 v54, v62, 0x3f4178ce, v63
	v_fmac_f32_e32 v63, 0xbf4178ce, v62
	v_add_f32_e32 v49, v49, v57
	v_add_f32_e32 v57, v6, v8
	s_delay_alu instid0(VALU_DEP_3) | instskip(SKIP_1) | instid1(VALU_DEP_3)
	v_dual_add_f32 v46, v46, v63 :: v_dual_sub_f32 v63, v7, v9
	v_dual_mul_f32 v58, 0xbe11bafb, v53 :: v_dual_add_f32 v47, v47, v54
	v_mul_f32_e32 v59, 0xbf75a155, v57
	s_delay_alu instid0(VALU_DEP_2) | instskip(SKIP_1) | instid1(VALU_DEP_2)
	v_fmamk_f32 v54, v62, 0xbf7d64f0, v58
	v_fmac_f32_e32 v58, 0x3f7d64f0, v62
	v_dual_add_f32 v54, v55, v54 :: v_dual_mul_f32 v55, 0xbf75a155, v53
	s_delay_alu instid0(VALU_DEP_2) | instskip(NEXT) | instid1(VALU_DEP_2)
	v_dual_mul_f32 v53, 0x3ed4b147, v53 :: v_dual_add_f32 v52, v52, v58
	v_fmamk_f32 v58, v62, 0x3e903f40, v55
	s_delay_alu instid0(VALU_DEP_2) | instskip(SKIP_1) | instid1(VALU_DEP_2)
	v_fmamk_f32 v61, v62, 0xbf68dda4, v53
	v_fmac_f32_e32 v55, 0xbe903f40, v62
	v_dual_fmac_f32 v53, 0x3f68dda4, v62 :: v_dual_add_f32 v62, v50, v61
	s_delay_alu instid0(VALU_DEP_2) | instskip(NEXT) | instid1(VALU_DEP_2)
	v_dual_add_f32 v48, v48, v55 :: v_dual_fmamk_f32 v55, v63, 0x3e903f40, v59
	v_add_f32_e32 v70, v14, v53
	v_mul_f32_e32 v14, 0xbf27a4f4, v57
	v_fmac_f32_e32 v59, 0xbe903f40, v63
	v_mul_f32_e32 v53, 0x3ed4b147, v57
	v_add_f32_e32 v71, v55, v47
	s_delay_alu instid0(VALU_DEP_4) | instskip(NEXT) | instid1(VALU_DEP_4)
	v_fmamk_f32 v47, v63, 0x3f4178ce, v14
	v_add_f32_e32 v72, v59, v46
	s_delay_alu instid0(VALU_DEP_2) | instskip(SKIP_2) | instid1(VALU_DEP_2)
	v_add_f32_e32 v75, v47, v51
	v_dual_sub_f32 v47, v17, v21 :: v_dual_add_f32 v56, v56, v58
	v_mul_f32_e32 v50, 0x3f575c64, v57
	v_dual_sub_f32 v51, v11, v25 :: v_dual_mul_f32 v64, 0xbf4178ce, v47
	s_delay_alu instid0(VALU_DEP_2) | instskip(NEXT) | instid1(VALU_DEP_2)
	v_fmamk_f32 v46, v63, 0xbf0a6770, v50
	v_mul_f32_e32 v58, 0x3f68dda4, v51
	s_delay_alu instid0(VALU_DEP_2) | instskip(SKIP_2) | instid1(VALU_DEP_2)
	v_dual_mul_f32 v66, 0xbf0a6770, v51 :: v_dual_add_f32 v73, v46, v54
	v_fmamk_f32 v46, v63, 0xbf68dda4, v53
	v_fmac_f32_e32 v53, 0x3f68dda4, v63
	v_add_f32_e32 v77, v46, v56
	v_add_f32_e32 v46, v16, v20
	v_fmac_f32_e32 v50, 0x3f0a6770, v63
	s_delay_alu instid0(VALU_DEP_4) | instskip(NEXT) | instid1(VALU_DEP_2)
	v_dual_mul_f32 v56, 0xbf7d64f0, v47 :: v_dual_add_f32 v79, v53, v48
	v_add_f32_e32 v74, v50, v52
	s_delay_alu instid0(VALU_DEP_2) | instskip(SKIP_2) | instid1(VALU_DEP_3)
	v_fma_f32 v50, 0xbe11bafb, v46, -v56
	v_fmac_f32_e32 v14, 0xbf4178ce, v63
	v_fma_f32 v52, 0xbf27a4f4, v46, -v64
	v_add_f32_e32 v53, v2, v50
	s_delay_alu instid0(VALU_DEP_3) | instskip(SKIP_1) | instid1(VALU_DEP_2)
	v_dual_add_f32 v76, v14, v49 :: v_dual_sub_f32 v49, v13, v23
	v_add_f32_e32 v48, v12, v22
	v_dual_add_f32 v52, v2, v52 :: v_dual_mul_f32 v65, 0x3f7d64f0, v49
	s_delay_alu instid0(VALU_DEP_1) | instskip(SKIP_2) | instid1(VALU_DEP_2)
	v_fma_f32 v55, 0xbe11bafb, v48, -v65
	v_mul_f32_e32 v78, 0xbe11bafb, v57
	v_mul_f32_e32 v57, 0x3e903f40, v49
	v_dual_add_f32 v59, v52, v55 :: v_dual_fmamk_f32 v14, v63, 0x3f7d64f0, v78
	s_delay_alu instid0(VALU_DEP_2) | instskip(SKIP_1) | instid1(VALU_DEP_2)
	v_fma_f32 v54, 0xbf75a155, v48, -v57
	v_fmac_f32_e32 v78, 0xbf7d64f0, v63
	v_add_f32_e32 v54, v53, v54
	v_dual_sub_f32 v53, v41, v31 :: v_dual_add_f32 v50, v10, v24
	s_delay_alu instid0(VALU_DEP_1) | instskip(NEXT) | instid1(VALU_DEP_2)
	v_dual_add_f32 v70, v78, v70 :: v_dual_mul_f32 v61, 0xbf0a6770, v53
	v_fma_f32 v55, 0x3ed4b147, v50, -v58
	v_fma_f32 v67, 0x3f575c64, v50, -v66
	s_delay_alu instid0(VALU_DEP_1) | instskip(NEXT) | instid1(VALU_DEP_3)
	v_dual_mul_f32 v68, 0xbe903f40, v53 :: v_dual_add_f32 v81, v59, v67
	v_add_f32_e32 v80, v54, v55
	v_dual_sub_f32 v55, v33, v35 :: v_dual_add_f32 v52, v40, v30
	s_delay_alu instid0(VALU_DEP_1) | instskip(SKIP_1) | instid1(VALU_DEP_3)
	v_dual_add_f32 v54, v32, v34 :: v_dual_mul_f32 v67, 0x3f68dda4, v55
	v_mul_f32_e32 v59, 0xbf4178ce, v55
	v_fma_f32 v82, 0x3f575c64, v52, -v61
	v_fma_f32 v83, 0xbf75a155, v52, -v68
	s_delay_alu instid0(VALU_DEP_1) | instskip(NEXT) | instid1(VALU_DEP_4)
	v_dual_add_f32 v63, v80, v82 :: v_dual_add_f32 v80, v81, v83
	v_fma_f32 v81, 0xbf27a4f4, v54, -v59
	v_fma_f32 v82, 0x3ed4b147, v54, -v67
	v_add_f32_e32 v83, v14, v62
	v_mad_u32_u24 v14, v60, 44, 0
	ds_store_2addr_b32 v14, v69, v71 offset1:1
	ds_store_2addr_b32 v14, v73, v75 offset0:2 offset1:3
	ds_store_2addr_b32 v14, v77, v83 offset0:4 offset1:5
	;; [unrolled: 1-line block ×4, first 2 shown]
	ds_store_b32 v14, v72 offset:40
	v_dual_add_f32 v63, v63, v81 :: v_dual_add_f32 v62, v80, v82
	s_and_saveexec_b32 s0, s1
	s_cbranch_execz .LBB0_15
; %bb.14:
	v_mul_f32_e32 v69, 0xbe903f40, v47
	v_mul_f32_e32 v75, 0x3f0a6770, v49
	v_dual_mul_f32 v70, 0xbe11bafb, v46 :: v_dual_mul_f32 v73, 0xbe11bafb, v48
	v_mul_f32_e32 v80, 0xbf4178ce, v51
	s_delay_alu instid0(VALU_DEP_4) | instskip(NEXT) | instid1(VALU_DEP_4)
	v_dual_fmamk_f32 v74, v46, 0xbf75a155, v69 :: v_dual_mul_f32 v81, 0xbf75a155, v52
	v_fmamk_f32 v79, v48, 0x3f575c64, v75
	s_delay_alu instid0(VALU_DEP_4) | instskip(NEXT) | instid1(VALU_DEP_3)
	v_dual_add_f32 v65, v65, v73 :: v_dual_mul_f32 v82, 0xbf27a4f4, v54
	v_add_f32_e32 v74, v2, v74
	v_mul_f32_e32 v71, 0xbf27a4f4, v46
	v_fma_f32 v69, 0xbf75a155, v46, -v69
	v_mul_f32_e32 v72, 0xbf75a155, v48
	v_dual_mul_f32 v77, 0x3f575c64, v50 :: v_dual_mul_f32 v78, 0x3f575c64, v52
	v_add_f32_e32 v74, v74, v79
	v_fmamk_f32 v79, v50, 0xbf27a4f4, v80
	v_dual_mul_f32 v83, 0x3f68dda4, v53 :: v_dual_add_f32 v64, v64, v71
	v_dual_add_f32 v69, v2, v69 :: v_dual_mul_f32 v76, 0x3ed4b147, v50
	s_delay_alu instid0(VALU_DEP_2) | instskip(SKIP_4) | instid1(VALU_DEP_4)
	v_dual_add_f32 v74, v74, v79 :: v_dual_fmamk_f32 v79, v52, 0x3ed4b147, v83
	v_fma_f32 v75, 0x3f575c64, v48, -v75
	v_mul_f32_e32 v84, 0x3ed4b147, v54
	v_dual_mul_f32 v85, 0xbf7d64f0, v55 :: v_dual_add_f32 v56, v56, v70
	v_fma_f32 v71, 0xbf27a4f4, v50, -v80
	v_dual_add_f32 v69, v69, v75 :: v_dual_add_f32 v64, v2, v64
	v_dual_add_f32 v74, v74, v79 :: v_dual_add_f32 v57, v57, v72
	s_delay_alu instid0(VALU_DEP_4) | instskip(NEXT) | instid1(VALU_DEP_3)
	v_fmamk_f32 v75, v54, 0xbe11bafb, v85
	v_dual_add_f32 v69, v69, v71 :: v_dual_add_f32 v56, v2, v56
	v_fma_f32 v71, 0x3ed4b147, v52, -v83
	v_add_f32_e32 v64, v64, v65
	v_add_f32_e32 v65, v66, v77
	s_delay_alu instid0(VALU_DEP_4) | instskip(NEXT) | instid1(VALU_DEP_4)
	v_dual_add_f32 v67, v67, v84 :: v_dual_add_f32 v56, v56, v57
	v_dual_add_f32 v57, v58, v76 :: v_dual_add_f32 v66, v69, v71
	s_delay_alu instid0(VALU_DEP_3) | instskip(SKIP_3) | instid1(VALU_DEP_3)
	v_dual_add_f32 v73, v74, v75 :: v_dual_add_f32 v64, v64, v65
	v_fma_f32 v69, 0xbe11bafb, v54, -v85
	v_dual_add_f32 v65, v68, v81 :: v_dual_mul_f32 v68, 0xbf68dda4, v47
	v_add_f32_e32 v59, v59, v82
	v_dual_mul_f32 v47, 0xbf0a6770, v47 :: v_dual_add_f32 v66, v66, v69
	s_delay_alu instid0(VALU_DEP_3) | instskip(NEXT) | instid1(VALU_DEP_4)
	v_add_f32_e32 v58, v64, v65
	v_fmamk_f32 v64, v46, 0x3ed4b147, v68
	v_dual_add_f32 v56, v56, v57 :: v_dual_add_f32 v57, v61, v78
	s_delay_alu instid0(VALU_DEP_3) | instskip(NEXT) | instid1(VALU_DEP_3)
	v_dual_mul_f32 v65, 0xbf4178ce, v49 :: v_dual_add_f32 v58, v58, v67
	v_add_f32_e32 v61, v2, v64
	s_delay_alu instid0(VALU_DEP_3) | instskip(SKIP_1) | instid1(VALU_DEP_4)
	v_dual_mul_f32 v69, 0x3e903f40, v51 :: v_dual_add_f32 v56, v56, v57
	v_fma_f32 v57, 0x3ed4b147, v46, -v68
	v_fmamk_f32 v64, v48, 0xbf27a4f4, v65
	v_mul_f32_e32 v67, 0x3f7d64f0, v53
	v_fma_f32 v65, 0xbf27a4f4, v48, -v65
	s_delay_alu instid0(VALU_DEP_4) | instskip(NEXT) | instid1(VALU_DEP_4)
	v_dual_add_f32 v56, v56, v59 :: v_dual_add_f32 v57, v2, v57
	v_dual_add_f32 v61, v61, v64 :: v_dual_fmamk_f32 v64, v50, 0xbf75a155, v69
	v_add_f32_e32 v59, v2, v16
	s_delay_alu instid0(VALU_DEP_3) | instskip(SKIP_1) | instid1(VALU_DEP_4)
	v_dual_fmamk_f32 v68, v46, 0x3f575c64, v47 :: v_dual_add_f32 v57, v57, v65
	v_fma_f32 v46, 0x3f575c64, v46, -v47
	v_dual_add_f32 v61, v61, v64 :: v_dual_fmamk_f32 v64, v52, 0xbe11bafb, v67
	v_fma_f32 v65, 0xbf75a155, v50, -v69
	s_delay_alu instid0(VALU_DEP_2) | instskip(SKIP_1) | instid1(VALU_DEP_1)
	v_dual_add_f32 v61, v61, v64 :: v_dual_mul_f32 v64, 0x3f0a6770, v55
	v_add_f32_e32 v59, v59, v12
	v_add_f32_e32 v59, v59, v10
	s_delay_alu instid0(VALU_DEP_1) | instskip(SKIP_4) | instid1(VALU_DEP_1)
	v_add_f32_e32 v47, v59, v40
	v_add_f32_e32 v57, v57, v65
	;; [unrolled: 1-line block ×4, first 2 shown]
	v_fma_f32 v65, 0xbe11bafb, v52, -v67
	v_dual_add_f32 v46, v47, v32 :: v_dual_add_f32 v57, v57, v65
	s_delay_alu instid0(VALU_DEP_1) | instskip(NEXT) | instid1(VALU_DEP_1)
	v_dual_add_f32 v46, v46, v34 :: v_dual_mul_f32 v49, 0xbf68dda4, v49
	v_add_f32_e32 v46, v30, v46
	s_delay_alu instid0(VALU_DEP_2) | instskip(NEXT) | instid1(VALU_DEP_2)
	v_fma_f32 v47, 0x3ed4b147, v48, -v49
	v_dual_add_f32 v46, v24, v46 :: v_dual_mul_f32 v51, 0xbf7d64f0, v51
	s_delay_alu instid0(VALU_DEP_2) | instskip(NEXT) | instid1(VALU_DEP_2)
	v_add_f32_e32 v2, v2, v47
	v_add_f32_e32 v46, v22, v46
	s_delay_alu instid0(VALU_DEP_3)
	v_fma_f32 v47, 0xbe11bafb, v50, -v51
	v_fmamk_f32 v65, v48, 0x3ed4b147, v49
	v_fmamk_f32 v49, v50, 0xbe11bafb, v51
	v_mul_f32_e32 v50, 0xbe903f40, v55
	v_fma_f32 v51, 0x3f575c64, v54, -v64
	v_dual_add_f32 v2, v2, v47 :: v_dual_mul_f32 v53, 0xbf4178ce, v53
	v_dual_add_f32 v48, v59, v65 :: v_dual_fmamk_f32 v67, v54, 0x3f575c64, v64
	v_add_f32_e32 v46, v20, v46
	s_delay_alu instid0(VALU_DEP_3) | instskip(NEXT) | instid1(VALU_DEP_3)
	v_fma_f32 v47, 0xbf27a4f4, v52, -v53
	v_add_f32_e32 v48, v48, v49
	s_delay_alu instid0(VALU_DEP_2) | instskip(SKIP_3) | instid1(VALU_DEP_3)
	v_add_f32_e32 v2, v2, v47
	v_fma_f32 v47, 0xbf75a155, v54, -v50
	v_fmamk_f32 v49, v52, 0xbf27a4f4, v53
	v_add_nc_u32_e32 v52, 0x1300, v14
	v_dual_add_f32 v2, v2, v47 :: v_dual_add_nc_u32 v53, 0x1308, v14
	s_delay_alu instid0(VALU_DEP_3) | instskip(SKIP_3) | instid1(VALU_DEP_4)
	v_dual_add_f32 v48, v48, v49 :: v_dual_fmamk_f32 v49, v54, 0xbf75a155, v50
	v_add_f32_e32 v51, v57, v51
	v_dual_add_f32 v50, v61, v67 :: v_dual_add_nc_u32 v47, 0x12f0, v14
	v_add_nc_u32_e32 v54, 0x12e8, v14
	v_dual_add_f32 v48, v48, v49 :: v_dual_add_nc_u32 v49, 0x12f8, v14
	ds_store_2addr_b32 v47, v51, v63 offset1:1
	ds_store_2addr_b32 v49, v62, v66 offset1:1
	;; [unrolled: 1-line block ×5, first 2 shown]
	ds_store_b32 v14, v48 offset:4880
.LBB0_15:
	s_wait_alu 0xfffe
	s_or_b32 exec_lo, exec_lo, s0
	v_mad_i32_i24 v61, 0xffffffd8, v60, v14
	global_wb scope:SCOPE_SE
	s_wait_dscnt 0x0
	s_barrier_signal -1
	s_barrier_wait -1
	global_inv scope:SCOPE_SE
	v_add_nc_u32_e32 v2, 0xa00, v61
	v_add_nc_u32_e32 v46, 0xe00, v61
	;; [unrolled: 1-line block ×5, first 2 shown]
	ds_load_2addr_b32 v[52:53], v2 offset0:20 offset1:185
	v_add_nc_u32_e32 v2, 0x600, v61
	ds_load_2addr_b32 v[54:55], v61 offset1:110
	ds_load_2addr_b32 v[50:51], v46 offset0:39 offset1:149
	ds_load_2addr_b32 v[56:57], v47 offset0:92 offset1:202
	;; [unrolled: 1-line block ×5, first 2 shown]
	v_cmp_gt_u32_e64 s0, 55, v60
	s_delay_alu instid0(VALU_DEP_1)
	s_and_saveexec_b32 s2, s0
	s_cbranch_execz .LBB0_17
; %bb.16:
	ds_load_b32 v63, v61 offset:3080
	ds_load_b32 v62, v61 offset:6380
.LBB0_17:
	s_wait_alu 0xfffe
	s_or_b32 exec_lo, exec_lo, s2
	v_sub_f32_e32 v38, v38, v42
	v_add_f32_e32 v2, v15, v39
	v_add_f32_e32 v39, v39, v43
	;; [unrolled: 1-line block ×3, first 2 shown]
	s_delay_alu instid0(VALU_DEP_4) | instskip(NEXT) | instid1(VALU_DEP_4)
	v_dual_sub_f32 v6, v6, v8 :: v_dual_mul_f32 v65, 0xbf4178ce, v38
	v_dual_add_f32 v2, v2, v27 :: v_dual_mul_f32 v27, 0xbf0a6770, v38
	v_sub_f32_e32 v26, v26, v44
	v_sub_f32_e32 v18, v18, v28
	;; [unrolled: 1-line block ×3, first 2 shown]
	global_wb scope:SCOPE_SE
	s_wait_dscnt 0x0
	v_fmamk_f32 v69, v39, 0x3f575c64, v27
	v_fma_f32 v27, 0x3f575c64, v39, -v27
	v_mul_f32_e32 v64, 0xbf7d64f0, v38
	v_mul_f32_e32 v67, 0xbf4178ce, v26
	s_delay_alu instid0(VALU_DEP_4) | instskip(NEXT) | instid1(VALU_DEP_4)
	v_dual_mul_f32 v44, 0xbf68dda4, v38 :: v_dual_add_f32 v69, v69, v15
	v_dual_add_f32 v27, v27, v15 :: v_dual_add_f32 v2, v2, v5
	s_delay_alu instid0(VALU_DEP_4) | instskip(SKIP_3) | instid1(VALU_DEP_4)
	v_fmamk_f32 v71, v39, 0xbe11bafb, v64
	v_mul_f32_e32 v38, 0xbe903f40, v38
	v_dual_fmamk_f32 v74, v42, 0xbf27a4f4, v67 :: v_dual_add_f32 v5, v5, v37
	v_fma_f32 v64, 0xbe11bafb, v39, -v64
	v_add_f32_e32 v71, v71, v15
	s_delay_alu instid0(VALU_DEP_4) | instskip(SKIP_3) | instid1(VALU_DEP_4)
	v_dual_add_f32 v2, v2, v19 :: v_dual_fmamk_f32 v73, v39, 0xbf75a155, v38
	v_fma_f32 v38, 0xbf75a155, v39, -v38
	v_fmamk_f32 v70, v39, 0x3ed4b147, v44
	v_fma_f32 v44, 0x3ed4b147, v39, -v44
	v_add_f32_e32 v2, v2, v7
	v_mul_f32_e32 v68, 0x3e903f40, v26
	v_mul_f32_e32 v8, 0x3f68dda4, v18
	s_barrier_signal -1
	v_add_f32_e32 v44, v44, v15
	v_add_f32_e32 v2, v2, v9
	s_barrier_wait -1
	global_inv scope:SCOPE_SE
	v_add_f32_e32 v64, v64, v15
	v_dual_add_f32 v19, v29, v19 :: v_dual_add_f32 v2, v2, v29
	s_delay_alu instid0(VALU_DEP_1) | instskip(NEXT) | instid1(VALU_DEP_1)
	v_dual_mul_f32 v29, 0xbf4178ce, v18 :: v_dual_add_f32 v2, v2, v37
	v_dual_mul_f32 v37, 0xbf7d64f0, v4 :: v_dual_add_f32 v2, v45, v2
	v_fmamk_f32 v72, v39, 0xbf27a4f4, v65
	v_fma_f32 v65, 0xbf27a4f4, v39, -v65
	v_mul_f32_e32 v66, 0xbf68dda4, v26
	s_delay_alu instid0(VALU_DEP_3) | instskip(NEXT) | instid1(VALU_DEP_3)
	v_add_f32_e32 v72, v72, v15
	v_add_f32_e32 v45, v65, v15
	s_delay_alu instid0(VALU_DEP_3)
	v_fmamk_f32 v39, v42, 0x3ed4b147, v66
	v_fma_f32 v66, 0x3ed4b147, v42, -v66
	v_add_f32_e32 v65, v73, v15
	v_add_f32_e32 v70, v70, v15
	;; [unrolled: 1-line block ×4, first 2 shown]
	v_dual_add_f32 v39, v2, v43 :: v_dual_add_f32 v2, v27, v66
	v_fma_f32 v27, 0xbf27a4f4, v42, -v67
	v_mul_f32_e32 v43, 0x3f7d64f0, v26
	v_fmamk_f32 v66, v42, 0xbf75a155, v68
	v_fma_f32 v68, 0xbf75a155, v42, -v68
	s_delay_alu instid0(VALU_DEP_4) | instskip(NEXT) | instid1(VALU_DEP_2)
	v_dual_mul_f32 v26, 0x3f0a6770, v26 :: v_dual_add_f32 v27, v44, v27
	v_add_f32_e32 v64, v64, v68
	v_fmamk_f32 v44, v42, 0xbe11bafb, v43
	v_fma_f32 v43, 0xbe11bafb, v42, -v43
	s_delay_alu instid0(VALU_DEP_2) | instskip(SKIP_2) | instid1(VALU_DEP_4)
	v_add_f32_e32 v36, v72, v44
	v_fmamk_f32 v44, v42, 0x3f575c64, v26
	v_fma_f32 v26, 0x3f575c64, v42, -v26
	v_add_f32_e32 v42, v45, v43
	v_fmamk_f32 v45, v5, 0xbe11bafb, v37
	s_delay_alu instid0(VALU_DEP_4) | instskip(SKIP_4) | instid1(VALU_DEP_4)
	v_add_f32_e32 v43, v65, v44
	v_dual_mul_f32 v44, 0x3e903f40, v4 :: v_dual_add_f32 v67, v70, v74
	v_add_f32_e32 v15, v15, v26
	v_fma_f32 v26, 0xbe11bafb, v5, -v37
	v_mul_f32_e32 v37, 0x3f68dda4, v4
	v_fmamk_f32 v65, v5, 0xbf75a155, v44
	v_fma_f32 v44, 0xbf75a155, v5, -v44
	v_add_f32_e32 v38, v45, v38
	s_delay_alu instid0(VALU_DEP_3) | instskip(NEXT) | instid1(VALU_DEP_3)
	v_dual_add_f32 v2, v26, v2 :: v_dual_add_f32 v45, v65, v67
	v_dual_add_f32 v66, v71, v66 :: v_dual_add_f32 v27, v44, v27
	v_mul_f32_e32 v44, 0xbf0a6770, v4
	v_mul_f32_e32 v4, 0xbf4178ce, v4
	s_delay_alu instid0(VALU_DEP_2) | instskip(SKIP_3) | instid1(VALU_DEP_1)
	v_fmamk_f32 v28, v5, 0x3f575c64, v44
	v_fma_f32 v44, 0x3f575c64, v5, -v44
	v_fmamk_f32 v26, v5, 0x3ed4b147, v37
	v_fma_f32 v37, 0x3ed4b147, v5, -v37
	v_add_f32_e32 v37, v37, v64
	v_fmamk_f32 v64, v5, 0xbf27a4f4, v4
	v_fma_f32 v4, 0xbf27a4f4, v5, -v4
	v_dual_add_f32 v5, v44, v42 :: v_dual_fmamk_f32 v42, v19, 0xbf27a4f4, v29
	s_delay_alu instid0(VALU_DEP_2) | instskip(SKIP_3) | instid1(VALU_DEP_2)
	v_add_f32_e32 v4, v4, v15
	v_fma_f32 v15, 0xbf27a4f4, v19, -v29
	v_mul_f32_e32 v29, 0xbf0a6770, v18
	v_add_f32_e32 v26, v26, v66
	v_dual_add_f32 v2, v2, v15 :: v_dual_fmamk_f32 v15, v19, 0x3f575c64, v29
	v_fma_f32 v29, 0x3f575c64, v19, -v29
	s_delay_alu instid0(VALU_DEP_2) | instskip(NEXT) | instid1(VALU_DEP_2)
	v_dual_add_f32 v28, v28, v36 :: v_dual_add_f32 v15, v26, v15
	v_add_f32_e32 v26, v37, v29
	v_dual_add_f32 v37, v7, v9 :: v_dual_add_f32 v36, v64, v43
	v_mul_f32_e32 v7, 0xbe903f40, v6
	v_mul_f32_e32 v43, 0x3f7d64f0, v18
	v_dual_add_f32 v38, v38, v42 :: v_dual_fmamk_f32 v9, v19, 0x3ed4b147, v8
	s_delay_alu instid0(VALU_DEP_2) | instskip(SKIP_1) | instid1(VALU_DEP_3)
	v_fmamk_f32 v42, v19, 0xbe11bafb, v43
	v_fma_f32 v43, 0xbe11bafb, v19, -v43
	v_dual_add_f32 v44, v36, v9 :: v_dual_mul_f32 v9, 0x3f0a6770, v6
	v_sub_f32_e32 v36, v16, v20
	s_delay_alu instid0(VALU_DEP_3) | instskip(SKIP_2) | instid1(VALU_DEP_3)
	v_dual_sub_f32 v20, v12, v22 :: v_dual_add_f32 v27, v27, v43
	v_dual_mul_f32 v43, 0xbe903f40, v18 :: v_dual_add_f32 v12, v11, v25
	v_add_f32_e32 v16, v13, v23
	v_mul_f32_e32 v22, 0x3e903f40, v20
	s_delay_alu instid0(VALU_DEP_3) | instskip(NEXT) | instid1(VALU_DEP_1)
	v_fma_f32 v29, 0xbf75a155, v19, -v43
	v_dual_fmamk_f32 v18, v19, 0xbf75a155, v43 :: v_dual_add_f32 v43, v5, v29
	v_fma_f32 v5, 0x3ed4b147, v19, -v8
	v_fmamk_f32 v8, v37, 0xbf75a155, v7
	v_fma_f32 v7, 0xbf75a155, v37, -v7
	s_delay_alu instid0(VALU_DEP_1) | instskip(SKIP_1) | instid1(VALU_DEP_1)
	v_dual_mul_f32 v29, 0xbf4178ce, v36 :: v_dual_add_f32 v64, v7, v2
	v_fma_f32 v7, 0x3f575c64, v37, -v9
	v_add_f32_e32 v66, v7, v27
	v_add_f32_e32 v7, v41, v31
	v_dual_add_f32 v42, v45, v42 :: v_dual_add_f32 v45, v4, v5
	v_fmamk_f32 v5, v37, 0x3f575c64, v9
	v_dual_add_f32 v27, v17, v21 :: v_dual_add_f32 v38, v8, v38
	s_delay_alu instid0(VALU_DEP_2) | instskip(SKIP_1) | instid1(VALU_DEP_1)
	v_add_f32_e32 v65, v5, v42
	v_mul_f32_e32 v42, 0xbf7d64f0, v6
	v_fmamk_f32 v71, v37, 0xbe11bafb, v42
	v_mul_f32_e32 v4, 0xbf4178ce, v6
	v_mul_f32_e32 v2, 0x3f68dda4, v6
	s_delay_alu instid0(VALU_DEP_3) | instskip(NEXT) | instid1(VALU_DEP_3)
	v_add_f32_e32 v44, v71, v44
	v_fmamk_f32 v8, v37, 0xbf27a4f4, v4
	v_fma_f32 v4, 0xbf27a4f4, v37, -v4
	s_delay_alu instid0(VALU_DEP_4)
	v_fmamk_f32 v5, v37, 0x3ed4b147, v2
	v_fma_f32 v70, 0x3ed4b147, v37, -v2
	v_fma_f32 v37, 0xbe11bafb, v37, -v42
	v_add_f32_e32 v67, v8, v15
	v_sub_f32_e32 v8, v40, v30
	v_add_f32_e32 v18, v28, v18
	v_mul_f32_e32 v28, 0xbf7d64f0, v36
	v_sub_f32_e32 v15, v10, v24
	v_add_f32_e32 v43, v70, v43
	v_mul_f32_e32 v9, 0xbe903f40, v8
	s_delay_alu instid0(VALU_DEP_4)
	v_dual_add_f32 v69, v5, v18 :: v_dual_fmamk_f32 v2, v27, 0xbe11bafb, v28
	v_fmamk_f32 v5, v16, 0xbf75a155, v22
	v_dual_mul_f32 v19, 0x3f68dda4, v15 :: v_dual_add_f32 v68, v4, v26
	v_fmamk_f32 v4, v27, 0xbf27a4f4, v29
	v_mul_f32_e32 v26, 0x3f7d64f0, v20
	v_add_f32_e32 v2, v3, v2
	v_mul_f32_e32 v18, 0xbf0a6770, v15
	v_mul_f32_e32 v10, 0xbf0a6770, v8
	v_add_f32_e32 v4, v3, v4
	v_fmamk_f32 v6, v16, 0xbe11bafb, v26
	v_dual_add_f32 v2, v2, v5 :: v_dual_fmamk_f32 v5, v12, 0x3ed4b147, v19
	v_add_f32_e32 v37, v37, v45
	ds_store_2addr_b32 v14, v39, v38 offset1:1
	ds_store_2addr_b32 v14, v65, v67 offset0:2 offset1:3
	ds_store_2addr_b32 v14, v69, v44 offset0:4 offset1:5
	;; [unrolled: 1-line block ×4, first 2 shown]
	ds_store_b32 v14, v64 offset:40
	v_add_f32_e32 v4, v4, v6
	v_fmamk_f32 v6, v12, 0x3f575c64, v18
	v_dual_add_f32 v24, v2, v5 :: v_dual_sub_f32 v5, v32, v34
	v_fmamk_f32 v32, v7, 0x3f575c64, v10
	v_fmamk_f32 v34, v7, 0xbf75a155, v9
	s_delay_alu instid0(VALU_DEP_4)
	v_add_f32_e32 v30, v4, v6
	v_add_f32_e32 v2, v33, v35
	v_mul_f32_e32 v4, 0xbf4178ce, v5
	v_mul_f32_e32 v6, 0x3f68dda4, v5
	v_add_f32_e32 v24, v24, v32
	v_add_f32_e32 v30, v30, v34
	s_delay_alu instid0(VALU_DEP_4) | instskip(NEXT) | instid1(VALU_DEP_4)
	v_fmamk_f32 v32, v2, 0xbf27a4f4, v4
	v_fmamk_f32 v34, v2, 0x3ed4b147, v6
	s_delay_alu instid0(VALU_DEP_2) | instskip(NEXT) | instid1(VALU_DEP_2)
	v_add_f32_e32 v40, v24, v32
	v_add_f32_e32 v42, v30, v34
	v_add_nc_u32_e32 v32, 0x6e, v60
	s_and_saveexec_b32 s2, s1
	s_cbranch_execz .LBB0_19
; %bb.18:
	v_dual_add_f32 v14, v3, v17 :: v_dual_mul_f32 v17, 0xbe11bafb, v27
	v_mul_f32_e32 v24, 0xbf27a4f4, v27
	v_dual_mul_f32 v30, 0xbf75a155, v16 :: v_dual_mul_f32 v39, 0xbf75a155, v7
	s_delay_alu instid0(VALU_DEP_3) | instskip(SKIP_2) | instid1(VALU_DEP_3)
	v_dual_add_f32 v13, v14, v13 :: v_dual_mul_f32 v34, 0xbe11bafb, v16
	v_dual_mul_f32 v14, 0x3ed4b147, v12 :: v_dual_mul_f32 v43, 0x3ed4b147, v2
	v_dual_mul_f32 v37, 0x3f575c64, v12 :: v_dual_mul_f32 v38, 0x3f575c64, v7
	v_dual_add_f32 v11, v13, v11 :: v_dual_mul_f32 v44, 0xbf0a6770, v36
	v_dual_mul_f32 v13, 0xbf27a4f4, v2 :: v_dual_sub_f32 v24, v24, v29
	s_delay_alu instid0(VALU_DEP_2) | instskip(NEXT) | instid1(VALU_DEP_3)
	v_dual_sub_f32 v22, v30, v22 :: v_dual_add_f32 v11, v11, v41
	v_fmamk_f32 v65, v27, 0x3f575c64, v44
	v_mul_f32_e32 v45, 0xbf68dda4, v36
	v_mul_f32_e32 v36, 0xbe903f40, v36
	v_sub_f32_e32 v17, v17, v28
	v_dual_add_f32 v11, v11, v33 :: v_dual_mul_f32 v64, 0xbf4178ce, v20
	v_fma_f32 v33, 0x3f575c64, v27, -v44
	v_fmamk_f32 v44, v27, 0x3ed4b147, v45
	v_fma_f32 v45, 0x3ed4b147, v27, -v45
	s_delay_alu instid0(VALU_DEP_4) | instskip(SKIP_3) | instid1(VALU_DEP_4)
	v_add_f32_e32 v11, v11, v35
	v_dual_sub_f32 v9, v39, v9 :: v_dual_sub_f32 v4, v13, v4
	v_add_f32_e32 v33, v3, v33
	v_mul_f32_e32 v41, 0xbf68dda4, v20
	v_dual_add_f32 v11, v31, v11 :: v_dual_sub_f32 v26, v34, v26
	v_fmamk_f32 v28, v27, 0xbf75a155, v36
	v_mul_f32_e32 v20, 0x3f0a6770, v20
	s_delay_alu instid0(VALU_DEP_4) | instskip(NEXT) | instid1(VALU_DEP_4)
	v_fma_f32 v31, 0x3ed4b147, v16, -v41
	v_add_f32_e32 v11, v25, v11
	v_add_f32_e32 v17, v3, v17
	v_fma_f32 v27, 0xbf75a155, v27, -v36
	v_add_f32_e32 v36, v3, v65
	v_add_f32_e32 v24, v3, v24
	;; [unrolled: 1-line block ×3, first 2 shown]
	v_dual_add_f32 v23, v3, v28 :: v_dual_add_f32 v28, v33, v31
	v_fmamk_f32 v29, v16, 0x3ed4b147, v41
	v_add_f32_e32 v25, v3, v44
	v_dual_add_f32 v41, v3, v45 :: v_dual_add_f32 v24, v24, v26
	v_dual_fmamk_f32 v26, v16, 0x3f575c64, v20 :: v_dual_add_f32 v17, v17, v22
	v_mul_f32_e32 v22, 0xbf7d64f0, v15
	v_add_f32_e32 v3, v3, v27
	v_dual_add_f32 v27, v36, v29 :: v_dual_sub_f32 v14, v14, v19
	v_fmamk_f32 v35, v16, 0xbf27a4f4, v64
	v_dual_mul_f32 v29, 0x3e903f40, v15 :: v_dual_sub_f32 v18, v37, v18
	v_add_f32_e32 v11, v21, v11
	v_fma_f32 v21, 0xbf27a4f4, v16, -v64
	v_fma_f32 v16, 0x3f575c64, v16, -v20
	v_fmamk_f32 v20, v12, 0xbe11bafb, v22
	v_add_f32_e32 v18, v24, v18
	v_fma_f32 v22, 0xbe11bafb, v12, -v22
	v_add_f32_e32 v23, v23, v26
	v_dual_add_f32 v3, v3, v16 :: v_dual_add_f32 v14, v17, v14
	v_dual_add_f32 v16, v27, v20 :: v_dual_add_f32 v21, v41, v21
	s_delay_alu instid0(VALU_DEP_4) | instskip(SKIP_3) | instid1(VALU_DEP_3)
	v_add_f32_e32 v20, v28, v22
	v_fma_f32 v22, 0xbf75a155, v12, -v29
	v_add_f32_e32 v25, v25, v35
	v_dual_mul_f32 v15, 0xbf4178ce, v15 :: v_dual_sub_f32 v10, v38, v10
	v_dual_fmamk_f32 v26, v12, 0xbf75a155, v29 :: v_dual_add_f32 v19, v21, v22
	v_mul_f32_e32 v21, 0xbf4178ce, v8
	v_mul_f32_e32 v22, 0x3f7d64f0, v8
	s_delay_alu instid0(VALU_DEP_4) | instskip(SKIP_4) | instid1(VALU_DEP_4)
	v_add_f32_e32 v10, v14, v10
	v_mul_f32_e32 v8, 0x3f68dda4, v8
	v_fmamk_f32 v17, v12, 0xbf27a4f4, v15
	v_fma_f32 v12, 0xbf27a4f4, v12, -v15
	v_sub_f32_e32 v6, v43, v6
	v_fmamk_f32 v14, v7, 0x3ed4b147, v8
	v_fmamk_f32 v15, v7, 0xbf27a4f4, v21
	v_fma_f32 v21, 0xbf27a4f4, v7, -v21
	s_delay_alu instid0(VALU_DEP_2)
	v_dual_add_f32 v3, v3, v12 :: v_dual_add_f32 v12, v16, v15
	v_fmamk_f32 v15, v7, 0xbe11bafb, v22
	v_fma_f32 v16, 0xbe11bafb, v7, -v22
	v_fma_f32 v7, 0x3ed4b147, v7, -v8
	v_add_f32_e32 v8, v18, v9
	v_mul_f32_e32 v9, 0x3f0a6770, v5
	s_delay_alu instid0(VALU_DEP_4) | instskip(SKIP_1) | instid1(VALU_DEP_4)
	v_dual_add_f32 v25, v25, v26 :: v_dual_add_f32 v16, v19, v16
	v_add_f32_e32 v17, v23, v17
	v_dual_mul_f32 v19, 0xbe903f40, v5 :: v_dual_add_f32 v6, v8, v6
	s_delay_alu instid0(VALU_DEP_4) | instskip(SKIP_1) | instid1(VALU_DEP_4)
	v_fmamk_f32 v18, v2, 0x3f575c64, v9
	v_fma_f32 v9, 0x3f575c64, v2, -v9
	v_dual_mul_f32 v5, 0xbf7d64f0, v5 :: v_dual_add_f32 v14, v17, v14
	s_delay_alu instid0(VALU_DEP_4) | instskip(NEXT) | instid1(VALU_DEP_2)
	v_dual_fmamk_f32 v17, v2, 0xbf75a155, v19 :: v_dual_add_f32 v20, v20, v21
	v_dual_add_f32 v9, v16, v9 :: v_dual_fmamk_f32 v16, v2, 0xbe11bafb, v5
	s_delay_alu instid0(VALU_DEP_2)
	v_dual_add_f32 v15, v25, v15 :: v_dual_add_f32 v12, v12, v17
	v_add_f32_e32 v3, v3, v7
	v_fma_f32 v7, 0xbf75a155, v2, -v19
	v_fma_f32 v2, 0xbe11bafb, v2, -v5
	v_mad_u32_u24 v5, v32, 44, 0
	v_dual_add_f32 v15, v15, v18 :: v_dual_add_f32 v8, v14, v16
	s_delay_alu instid0(VALU_DEP_3)
	v_dual_add_f32 v7, v20, v7 :: v_dual_add_f32 v2, v3, v2
	v_add_f32_e32 v3, v10, v4
	ds_store_2addr_b32 v5, v11, v12 offset1:1
	ds_store_2addr_b32 v5, v15, v40 offset0:2 offset1:3
	ds_store_2addr_b32 v5, v42, v8 offset0:4 offset1:5
	;; [unrolled: 1-line block ×4, first 2 shown]
	ds_store_b32 v5, v7 offset:40
.LBB0_19:
	s_wait_alu 0xfffe
	s_or_b32 exec_lo, exec_lo, s2
	v_add_nc_u32_e32 v6, 0xe00, v61
	v_add_nc_u32_e32 v2, 0xa00, v61
	v_add_nc_u32_e32 v7, 0x200, v61
	v_add_nc_u32_e32 v8, 0x1000, v61
	v_add_nc_u32_e32 v9, 0x600, v61
	v_add_nc_u32_e32 v12, 0x1400, v61
	global_wb scope:SCOPE_SE
	s_wait_dscnt 0x0
	s_barrier_signal -1
	s_barrier_wait -1
	global_inv scope:SCOPE_SE
	ds_load_2addr_b32 v[4:5], v61 offset1:110
	ds_load_2addr_b32 v[2:3], v2 offset0:20 offset1:185
	ds_load_2addr_b32 v[10:11], v6 offset0:39 offset1:149
	;; [unrolled: 1-line block ×6, first 2 shown]
	s_and_saveexec_b32 s1, s0
	s_cbranch_execz .LBB0_21
; %bb.20:
	ds_load_b32 v40, v61 offset:3080
	ds_load_b32 v42, v61 offset:6380
.LBB0_21:
	s_wait_alu 0xfffe
	s_or_b32 exec_lo, exec_lo, s1
	v_and_b32_e32 v12, 0xff, v60
	v_and_b32_e32 v39, 0xff, v32
	v_add_nc_u32_e32 v34, 0x1b8, v60
	v_add_nc_u32_e32 v35, 0x14a, v60
	;; [unrolled: 1-line block ×3, first 2 shown]
	v_mul_lo_u16 v12, 0x75, v12
	v_mul_lo_u16 v14, 0x75, v39
	v_add_nc_u32_e32 v37, 0x294, v60
	v_and_b32_e32 v16, 0xffff, v34
	v_and_b32_e32 v15, 0xffff, v35
	v_lshrrev_b16 v12, 8, v12
	v_lshrrev_b16 v14, 8, v14
	v_and_b32_e32 v22, 0xffff, v13
	v_add_nc_u32_e32 v33, 0xdc, v60
	v_and_b32_e32 v23, 0xffff, v37
	v_sub_nc_u16 v17, v60, v12
	v_sub_nc_u16 v24, v32, v14
	v_mul_u32_u24_e32 v41, 0xba2f, v16
	v_mul_u32_u24_e32 v43, 0xba2f, v15
	;; [unrolled: 1-line block ×3, first 2 shown]
	v_lshrrev_b16 v17, 1, v17
	v_lshrrev_b16 v16, 1, v24
	v_and_b32_e32 v38, 0xffff, v33
	v_mul_u32_u24_e32 v22, 0xba2f, v23
	v_lshrrev_b32_e32 v65, 19, v41
	v_and_b32_e32 v17, 0x7f, v17
	v_and_b32_e32 v16, 0x7f, v16
	v_lshrrev_b32_e32 v66, 19, v15
	v_mul_u32_u24_e32 v44, 0xba2f, v38
	v_lshrrev_b32_e32 v67, 19, v22
	v_add_nc_u16 v12, v17, v12
	v_mul_lo_u16 v15, v65, 11
	v_add_nc_u16 v14, v16, v14
	v_mul_lo_u16 v16, v66, 11
	v_lshrrev_b32_e32 v45, 19, v44
	v_lshrrev_b16 v68, 3, v12
	v_mul_lo_u16 v17, v67, 11
	v_sub_nc_u16 v15, v34, v15
	v_lshrrev_b16 v69, 3, v14
	v_sub_nc_u16 v13, v13, v16
	v_mul_lo_u16 v14, v68, 11
	v_lshrrev_b32_e32 v64, 19, v43
	v_mul_lo_u16 v12, v45, 11
	v_sub_nc_u16 v17, v37, v17
	v_and_b32_e32 v70, 0xffff, v15
	v_sub_nc_u16 v14, v60, v14
	v_and_b32_e32 v71, 0xffff, v13
	v_mul_lo_u16 v16, v69, 11
	v_mul_lo_u16 v13, v64, 11
	v_and_b32_e32 v73, 0xffff, v17
	v_sub_nc_u16 v17, v33, v12
	v_lshlrev_b32_e32 v12, 3, v70
	v_and_b32_e32 v72, 0xff, v14
	v_lshlrev_b32_e32 v14, 3, v71
	v_add_nc_u32_e32 v36, 0x302, v60
	v_sub_nc_u16 v16, v32, v16
	v_sub_nc_u16 v22, v35, v13
	s_clause 0x1
	global_load_b64 v[12:13], v12, s[4:5]
	global_load_b64 v[14:15], v14, s[4:5]
	v_lshlrev_b32_e32 v23, 3, v73
	v_and_b32_e32 v24, 0xffff, v36
	v_and_b32_e32 v74, 0xff, v16
	;; [unrolled: 1-line block ×4, first 2 shown]
	global_load_b64 v[16:17], v23, s[4:5]
	v_lshlrev_b32_e32 v23, 3, v72
	v_mul_u32_u24_e32 v22, 0xba2f, v24
	v_lshlrev_b32_e32 v24, 3, v74
	v_lshlrev_b32_e32 v25, 3, v75
	;; [unrolled: 1-line block ×3, first 2 shown]
	s_clause 0x3
	global_load_b64 v[26:27], v23, s[4:5]
	global_load_b64 v[28:29], v24, s[4:5]
	;; [unrolled: 1-line block ×4, first 2 shown]
	v_mul_u32_u24_e32 v81, 0x58, v65
	v_mul_u32_u24_e32 v82, 0x58, v66
	;; [unrolled: 1-line block ×3, first 2 shown]
	v_lshlrev_b32_e32 v65, 2, v75
	v_lshlrev_b32_e32 v67, 2, v70
	;; [unrolled: 1-line block ×4, first 2 shown]
	v_and_b32_e32 v73, 0xffff, v68
	v_and_b32_e32 v75, 0xffff, v69
	v_lshrrev_b32_e32 v78, 19, v22
	v_add3_u32 v68, 0, v82, v70
	v_add3_u32 v69, 0, v83, v71
	v_mul_u32_u24_e32 v70, 0x58, v73
	v_mul_u32_u24_e32 v71, 0x58, v75
	v_lshlrev_b32_e32 v73, 2, v74
	v_mul_lo_u16 v22, v78, 11
	v_lshlrev_b32_e32 v66, 2, v76
	v_lshlrev_b32_e32 v72, 2, v72
	v_mul_u32_u24_e32 v80, 0x58, v64
	v_add3_u32 v71, 0, v71, v73
	v_mul_u32_u24_e32 v79, 0x58, v45
	v_mul_lo_u16 v45, v78, 22
	v_add3_u32 v70, 0, v70, v72
	v_add3_u32 v66, 0, v80, v66
	;; [unrolled: 1-line block ×4, first 2 shown]
	s_wait_loadcnt_dscnt 0x500
	v_dual_mul_f32 v74, v7, v13 :: v_dual_mul_f32 v75, v8, v15
	s_delay_alu instid0(VALU_DEP_1) | instskip(NEXT) | instid1(VALU_DEP_2)
	v_fma_f32 v74, v49, v12, -v74
	v_fma_f32 v75, v46, v14, -v75
	s_wait_loadcnt 0x4
	s_delay_alu instid0(VALU_DEP_2) | instskip(NEXT) | instid1(VALU_DEP_2)
	v_dual_mul_f32 v76, v9, v17 :: v_dual_sub_f32 v73, v58, v74
	v_sub_f32_e32 v74, v59, v75
	s_wait_loadcnt 0x3
	v_mul_f32_e32 v75, v3, v27
	v_sub_nc_u16 v22, v36, v22
	v_fma_f32 v72, v47, v16, -v76
	s_wait_loadcnt 0x2
	v_mul_f32_e32 v76, v10, v29
	s_wait_loadcnt 0x0
	v_mul_f32_e32 v78, v6, v25
	v_fma_f32 v75, v53, v26, -v75
	v_dual_sub_f32 v72, v52, v72 :: v_dual_and_b32 v77, 0xffff, v22
	v_fma_f32 v76, v50, v28, -v76
	s_delay_alu instid0(VALU_DEP_4) | instskip(NEXT) | instid1(VALU_DEP_3)
	v_fma_f32 v78, v48, v24, -v78
	v_dual_sub_f32 v75, v54, v75 :: v_dual_lshlrev_b32 v22, 3, v77
	v_dual_mul_f32 v77, v11, v31 :: v_dual_lshlrev_b32 v64, 2, v77
	s_delay_alu instid0(VALU_DEP_4) | instskip(NEXT) | instid1(VALU_DEP_4)
	v_sub_f32_e32 v76, v55, v76
	v_sub_f32_e32 v78, v57, v78
	global_load_b64 v[22:23], v22, s[4:5]
	v_fma_f32 v54, v54, 2.0, -v75
	v_fma_f32 v77, v51, v30, -v77
	v_fma_f32 v55, v55, 2.0, -v76
	v_fma_f32 v57, v57, 2.0, -v78
	;; [unrolled: 1-line block ×3, first 2 shown]
	global_wb scope:SCOPE_SE
	s_wait_loadcnt 0x0
	v_sub_f32_e32 v77, v56, v77
	s_barrier_signal -1
	s_barrier_wait -1
	global_inv scope:SCOPE_SE
	v_fma_f32 v59, v59, 2.0, -v74
	v_fma_f32 v56, v56, 2.0, -v77
	;; [unrolled: 1-line block ×3, first 2 shown]
	ds_store_2addr_b32 v70, v54, v75 offset1:11
	ds_store_2addr_b32 v71, v55, v76 offset1:11
	ds_store_2addr_b32 v65, v56, v77 offset1:11
	ds_store_2addr_b32 v66, v57, v78 offset1:11
	ds_store_2addr_b32 v67, v58, v73 offset1:11
	ds_store_2addr_b32 v68, v59, v74 offset1:11
	ds_store_2addr_b32 v69, v52, v72 offset1:11
	s_and_saveexec_b32 s1, s0
	s_cbranch_execz .LBB0_23
; %bb.22:
	v_mul_f32_e32 v52, v42, v23
	v_and_b32_e32 v54, 0xffff, v45
	s_delay_alu instid0(VALU_DEP_2) | instskip(NEXT) | instid1(VALU_DEP_2)
	v_fma_f32 v52, v62, v22, -v52
	v_lshlrev_b32_e32 v54, 2, v54
	s_delay_alu instid0(VALU_DEP_2) | instskip(NEXT) | instid1(VALU_DEP_2)
	v_sub_f32_e32 v52, v63, v52
	v_add3_u32 v54, 0, v64, v54
	s_delay_alu instid0(VALU_DEP_2)
	v_fma_f32 v55, v63, 2.0, -v52
	ds_store_2addr_b32 v54, v55, v52 offset1:11
.LBB0_23:
	s_wait_alu 0xfffe
	s_or_b32 exec_lo, exec_lo, s1
	v_dual_mul_f32 v25, v48, v25 :: v_dual_mul_f32 v46, v46, v15
	v_mul_f32_e32 v27, v53, v27
	v_mul_f32_e32 v31, v51, v31
	;; [unrolled: 1-line block ×3, first 2 shown]
	global_wb scope:SCOPE_SE
	s_wait_dscnt 0x0
	v_fmac_f32_e32 v46, v8, v14
	v_dual_fmac_f32 v27, v3, v26 :: v_dual_add_nc_u32 v26, 0xa00, v61
	v_mul_f32_e32 v29, v50, v29
	s_delay_alu instid0(VALU_DEP_3) | instskip(NEXT) | instid1(VALU_DEP_3)
	v_dual_fmac_f32 v25, v6, v24 :: v_dual_sub_f32 v46, v21, v46
	v_dual_sub_f32 v48, v4, v27 :: v_dual_mul_f32 v3, v49, v13
	s_delay_alu instid0(VALU_DEP_2) | instskip(SKIP_3) | instid1(VALU_DEP_4)
	v_dual_fmac_f32 v29, v10, v28 :: v_dual_sub_f32 v52, v19, v25
	v_add_nc_u32_e32 v25, 0x1000, v61
	v_dual_fmac_f32 v31, v11, v30 :: v_dual_add_nc_u32 v24, 0x600, v61
	v_add_nc_u32_e32 v28, 0x200, v61
	v_sub_f32_e32 v49, v5, v29
	v_add_nc_u32_e32 v27, 0x1400, v61
	v_add_nc_u32_e32 v29, 0xc00, v61
	v_fmac_f32_e32 v3, v7, v12
	v_fmac_f32_e32 v47, v9, v16
	v_fma_f32 v50, v4, 2.0, -v48
	v_fma_f32 v51, v5, 2.0, -v49
	s_barrier_signal -1
	s_barrier_wait -1
	global_inv scope:SCOPE_SE
	ds_load_2addr_b32 v[6:7], v61 offset1:110
	ds_load_2addr_b32 v[4:5], v24 offset0:56 offset1:166
	ds_load_2addr_b32 v[10:11], v25 offset0:76 offset1:186
	;; [unrolled: 1-line block ×6, first 2 shown]
	ds_load_b32 v30, v61 offset:6160
	v_sub_f32_e32 v31, v18, v31
	v_sub_f32_e32 v3, v20, v3
	;; [unrolled: 1-line block ×3, first 2 shown]
	v_fma_f32 v19, v19, 2.0, -v52
	v_fma_f32 v21, v21, 2.0, -v46
	;; [unrolled: 1-line block ×5, first 2 shown]
	global_wb scope:SCOPE_SE
	s_wait_dscnt 0x0
	s_barrier_signal -1
	s_barrier_wait -1
	global_inv scope:SCOPE_SE
	ds_store_2addr_b32 v70, v50, v48 offset1:11
	ds_store_2addr_b32 v71, v51, v49 offset1:11
	;; [unrolled: 1-line block ×7, first 2 shown]
	s_and_saveexec_b32 s1, s0
	s_cbranch_execz .LBB0_25
; %bb.24:
	v_dual_mul_f32 v2, v62, v23 :: v_dual_and_b32 v3, 0xffff, v45
	s_delay_alu instid0(VALU_DEP_1) | instskip(NEXT) | instid1(VALU_DEP_1)
	v_dual_fmac_f32 v2, v42, v22 :: v_dual_lshlrev_b32 v3, 2, v3
	v_sub_f32_e32 v2, v40, v2
	s_delay_alu instid0(VALU_DEP_2) | instskip(NEXT) | instid1(VALU_DEP_2)
	v_add3_u32 v3, 0, v64, v3
	v_fma_f32 v18, v40, 2.0, -v2
	ds_store_2addr_b32 v3, v18, v2 offset1:11
.LBB0_25:
	s_wait_alu 0xfffe
	s_or_b32 exec_lo, exec_lo, s1
	v_lshrrev_b32_e32 v2, 20, v44
	v_lshrrev_b32_e32 v70, 20, v41
	v_lshrrev_b32_e32 v31, 20, v43
	global_wb scope:SCOPE_SE
	s_wait_dscnt 0x0
	s_barrier_signal -1
	v_mul_lo_u16 v3, v2, 22
	v_mul_lo_u16 v19, v70, 22
	;; [unrolled: 1-line block ×3, first 2 shown]
	s_barrier_wait -1
	global_inv scope:SCOPE_SE
	v_sub_nc_u16 v3, v33, v3
	v_lshrrev_b16 v22, 1, v60
	v_sub_nc_u16 v18, v35, v18
	v_mul_u32_u24_e32 v31, 0x108, v31
	v_mul_u32_u24_e32 v70, 0x108, v70
	v_and_b32_e32 v71, 0xffff, v3
	v_sub_nc_u16 v3, v34, v19
	v_and_b32_e32 v72, 0xffff, v18
	v_cmp_gt_u32_e64 s0, 0x42, v60
	v_mul_u32_u24_e32 v81, 0x108, v2
	v_lshlrev_b32_e32 v18, 4, v71
	v_and_b32_e32 v73, 0xffff, v3
	v_mul_u32_u24_e32 v38, 0xf83f, v38
	global_load_b128 v[18:21], v18, s[4:5] offset:88
	v_lshlrev_b32_e32 v23, 4, v73
	v_lshlrev_b32_e32 v73, 2, v73
	v_lshrrev_b32_e32 v82, 22, v38
	global_load_b128 v[44:47], v23, s[4:5] offset:88
	v_lshlrev_b32_e32 v3, 4, v72
	v_add3_u32 v70, 0, v70, v73
	v_mul_lo_u16 v83, 0x42, v82
	global_load_b128 v[40:43], v3, s[4:5] offset:88
	v_and_b32_e32 v3, 0x7f, v22
	v_lshrrev_b16 v22, 1, v39
	v_mul_lo_u16 v39, 0xf9, v39
	s_delay_alu instid0(VALU_DEP_3) | instskip(NEXT) | instid1(VALU_DEP_3)
	v_mul_lo_u16 v3, 0xbb, v3
	v_mul_lo_u16 v22, 0xbb, v22
	s_delay_alu instid0(VALU_DEP_3) | instskip(NEXT) | instid1(VALU_DEP_3)
	v_lshrrev_b16 v80, 14, v39
	v_lshrrev_b16 v74, 11, v3
	s_delay_alu instid0(VALU_DEP_3) | instskip(NEXT) | instid1(VALU_DEP_2)
	v_lshrrev_b16 v75, 11, v22
	v_mul_lo_u16 v3, v74, 22
	s_delay_alu instid0(VALU_DEP_2) | instskip(SKIP_2) | instid1(VALU_DEP_4)
	v_mul_lo_u16 v22, v75, 22
	v_and_b32_e32 v75, 0xffff, v75
	v_and_b32_e32 v74, 0xffff, v74
	v_sub_nc_u16 v3, v60, v3
	s_delay_alu instid0(VALU_DEP_4) | instskip(NEXT) | instid1(VALU_DEP_4)
	v_sub_nc_u16 v22, v32, v22
	v_mul_u32_u24_e32 v75, 0x108, v75
	s_delay_alu instid0(VALU_DEP_4) | instskip(NEXT) | instid1(VALU_DEP_4)
	v_mul_u32_u24_e32 v74, 0x108, v74
	v_and_b32_e32 v76, 0xff, v3
	s_delay_alu instid0(VALU_DEP_4) | instskip(NEXT) | instid1(VALU_DEP_2)
	v_and_b32_e32 v77, 0xff, v22
	v_lshlrev_b32_e32 v3, 4, v76
	s_delay_alu instid0(VALU_DEP_2)
	v_lshlrev_b32_e32 v22, 4, v77
	s_clause 0x1
	global_load_b128 v[48:51], v3, s[4:5] offset:88
	global_load_b128 v[52:55], v22, s[4:5] offset:88
	ds_load_2addr_b32 v[22:23], v61 offset1:110
	ds_load_2addr_b32 v[56:57], v24 offset0:56 offset1:166
	ds_load_2addr_b32 v[58:59], v25 offset0:76 offset1:186
	;; [unrolled: 1-line block ×6, first 2 shown]
	ds_load_b32 v78, v61 offset:6160
	v_dual_mov_b32 v3, 0 :: v_dual_lshlrev_b32 v72, 2, v72
	global_wb scope:SCOPE_SE
	s_wait_loadcnt_dscnt 0x0
	s_barrier_signal -1
	s_barrier_wait -1
	global_inv scope:SCOPE_SE
	v_add3_u32 v72, 0, v31, v72
	v_mul_f32_e32 v84, v78, v47
	v_mul_f32_e32 v47, v30, v47
	s_delay_alu instid0(VALU_DEP_1) | instskip(SKIP_1) | instid1(VALU_DEP_1)
	v_fmac_f32_e32 v47, v78, v46
	v_lshlrev_b32_e32 v77, 2, v77
	v_add3_u32 v73, 0, v75, v77
	v_mul_f32_e32 v75, v66, v21
	v_mul_f32_e32 v21, v16, v21
	v_dual_mul_f32 v76, v68, v41 :: v_dual_lshlrev_b32 v31, 2, v76
	v_mul_f32_e32 v41, v14, v41
	s_delay_alu instid0(VALU_DEP_4) | instskip(NEXT) | instid1(VALU_DEP_4)
	v_fma_f32 v16, v16, v20, -v75
	v_fmac_f32_e32 v21, v66, v20
	s_delay_alu instid0(VALU_DEP_4)
	v_fma_f32 v14, v14, v40, -v76
	v_mul_f32_e32 v76, v58, v51
	v_mul_f32_e32 v78, v59, v55
	v_add3_u32 v74, 0, v74, v31
	v_mul_f32_e32 v31, v63, v19
	v_mul_f32_e32 v19, v13, v19
	;; [unrolled: 1-line block ×3, first 2 shown]
	v_fma_f32 v11, v11, v54, -v78
	v_mul_f32_e32 v75, v57, v49
	v_fma_f32 v13, v13, v18, -v31
	v_fmac_f32_e32 v19, v63, v18
	v_fma_f32 v18, v30, v46, -v84
	v_mul_f32_e32 v77, v67, v43
	v_mul_f32_e32 v43, v17, v43
	v_add_f32_e32 v30, v13, v16
	v_dual_add_f32 v20, v8, v13 :: v_dual_lshlrev_b32 v71, 2, v71
	v_sub_f32_e32 v13, v13, v16
	s_delay_alu instid0(VALU_DEP_4) | instskip(NEXT) | instid1(VALU_DEP_4)
	v_fmac_f32_e32 v43, v67, v42
	v_fma_f32 v8, -0.5, v30, v8
	v_fmac_f32_e32 v41, v68, v40
	v_add_nc_u32_e32 v79, 0xffffffbe, v60
	v_add_f32_e32 v16, v20, v16
	v_add3_u32 v71, 0, v81, v71
	v_mul_f32_e32 v81, v69, v45
	v_sub_f32_e32 v46, v41, v43
	s_wait_alu 0xf1ff
	v_cndmask_b32_e64 v79, v79, v60, s0
	v_dual_mul_f32 v45, v15, v45 :: v_dual_add_f32 v40, v64, v19
	v_fma_f32 v15, v15, v44, -v81
	v_mul_f32_e32 v51, v10, v51
	s_delay_alu instid0(VALU_DEP_4) | instskip(SKIP_1) | instid1(VALU_DEP_4)
	v_lshlrev_b32_e32 v2, 2, v79
	v_mul_lo_u16 v79, 0x42, v80
	v_dual_fmac_f32 v55, v59, v54 :: v_dual_add_f32 v66, v4, v15
	s_delay_alu instid0(VALU_DEP_4) | instskip(NEXT) | instid1(VALU_DEP_3)
	v_dual_fmac_f32 v51, v58, v50 :: v_dual_add_f32 v20, v40, v21
	v_sub_nc_u16 v79, v32, v79
	v_fma_f32 v10, v10, v50, -v76
	v_lshlrev_b64_e32 v[38:39], 3, v[2:3]
	v_and_b32_e32 v58, 0xffff, v80
	s_delay_alu instid0(VALU_DEP_4)
	v_and_b32_e32 v79, 0xff, v79
	v_mul_f32_e32 v49, v5, v49
	v_fma_f32 v5, v5, v48, -v75
	v_add_co_u32 v38, s0, s4, v38
	s_wait_alu 0xf1ff
	v_add_co_ci_u32_e64 v39, s0, s5, v39, s0
	v_fmac_f32_e32 v49, v57, v48
	v_add_f32_e32 v67, v15, v18
	v_sub_f32_e32 v15, v15, v18
	v_add_f32_e32 v18, v66, v18
	v_fma_f32 v17, v17, v42, -v77
	v_mul_f32_e32 v77, v62, v53
	v_dual_mul_f32 v53, v12, v53 :: v_dual_fmac_f32 v4, -0.5, v67
	v_fmac_f32_e32 v45, v69, v44
	v_add_f32_e32 v42, v9, v14
	v_add_f32_e32 v44, v14, v17
	s_delay_alu instid0(VALU_DEP_4)
	v_fmac_f32_e32 v53, v62, v52
	v_sub_f32_e32 v14, v14, v17
	v_add_f32_e32 v69, v56, v45
	v_fma_f32 v12, v12, v52, -v77
	v_sub_f32_e32 v68, v45, v47
	v_add_f32_e32 v52, v53, v55
	v_add_f32_e32 v50, v23, v53
	v_dual_add_f32 v40, v69, v47 :: v_dual_sub_f32 v31, v19, v21
	v_add_f32_e32 v19, v19, v21
	v_add_f32_e32 v17, v42, v17
	v_dual_fmac_f32 v9, -0.5, v44 :: v_dual_sub_f32 v44, v49, v51
	s_delay_alu instid0(VALU_DEP_4)
	v_fmamk_f32 v30, v31, 0x3f5db3d7, v8
	v_dual_fmac_f32 v8, 0xbf5db3d7, v31 :: v_dual_add_f32 v63, v65, v41
	v_add_f32_e32 v41, v41, v43
	v_fma_f32 v19, -0.5, v19, v64
	v_dual_add_f32 v31, v5, v10 :: v_dual_add_f32 v48, v12, v11
	v_fmac_f32_e32 v23, -0.5, v52
	s_delay_alu instid0(VALU_DEP_4) | instskip(NEXT) | instid1(VALU_DEP_4)
	v_fmac_f32_e32 v65, -0.5, v41
	v_fmamk_f32 v41, v13, 0xbf5db3d7, v19
	v_fmac_f32_e32 v19, 0x3f5db3d7, v13
	v_fmamk_f32 v13, v46, 0x3f5db3d7, v9
	v_fmac_f32_e32 v9, 0xbf5db3d7, v46
	v_fmamk_f32 v42, v14, 0xbf5db3d7, v65
	v_dual_fmac_f32 v65, 0x3f5db3d7, v14 :: v_dual_fmamk_f32 v14, v68, 0x3f5db3d7, v4
	v_dual_fmac_f32 v4, 0xbf5db3d7, v68 :: v_dual_add_f32 v45, v45, v47
	v_dual_add_f32 v46, v49, v51 :: v_dual_add_f32 v47, v7, v12
	v_sub_f32_e32 v12, v12, v11
	s_delay_alu instid0(VALU_DEP_3)
	v_dual_add_f32 v21, v63, v43 :: v_dual_fmac_f32 v56, -0.5, v45
	v_add_f32_e32 v45, v22, v49
	v_sub_f32_e32 v49, v53, v55
	v_fma_f32 v22, -0.5, v46, v22
	v_fmac_f32_e32 v7, -0.5, v48
	v_fmamk_f32 v43, v15, 0xbf5db3d7, v56
	v_dual_fmac_f32 v56, 0x3f5db3d7, v15 :: v_dual_add_f32 v15, v6, v5
	v_fma_f32 v6, -0.5, v31, v6
	v_sub_f32_e32 v5, v5, v10
	v_dual_add_f32 v11, v47, v11 :: v_dual_fmamk_f32 v54, v12, 0xbf5db3d7, v23
	s_delay_alu instid0(VALU_DEP_3) | instskip(SKIP_1) | instid1(VALU_DEP_4)
	v_dual_add_f32 v10, v15, v10 :: v_dual_fmamk_f32 v31, v44, 0x3f5db3d7, v6
	v_fmac_f32_e32 v6, 0xbf5db3d7, v44
	v_fmamk_f32 v44, v5, 0xbf5db3d7, v22
	v_dual_fmac_f32 v22, 0x3f5db3d7, v5 :: v_dual_fmamk_f32 v5, v49, 0x3f5db3d7, v7
	v_fmac_f32_e32 v7, 0xbf5db3d7, v49
	ds_store_2addr_b32 v74, v10, v31 offset1:22
	ds_store_b32 v74, v6 offset:176
	ds_store_2addr_b32 v73, v11, v5 offset1:22
	ds_store_b32 v73, v7 offset:176
	;; [unrolled: 2-line block ×5, first 2 shown]
	v_sub_nc_u16 v16, v33, v83
	v_add_f32_e32 v15, v45, v51
	v_add_f32_e32 v45, v50, v55
	global_wb scope:SCOPE_SE
	s_wait_dscnt 0x0
	s_barrier_signal -1
	v_and_b32_e32 v64, 0xffff, v16
	s_barrier_wait -1
	global_inv scope:SCOPE_SE
	ds_load_2addr_b32 v[6:7], v61 offset1:110
	ds_load_2addr_b32 v[4:5], v28 offset0:92 offset1:202
	ds_load_2addr_b32 v[30:31], v26 offset0:20 offset1:130
	;; [unrolled: 1-line block ×6, first 2 shown]
	ds_load_b32 v75, v61 offset:6160
	v_fmac_f32_e32 v23, 0x3f5db3d7, v12
	global_wb scope:SCOPE_SE
	s_wait_dscnt 0x0
	s_barrier_signal -1
	s_barrier_wait -1
	global_inv scope:SCOPE_SE
	ds_store_2addr_b32 v74, v15, v44 offset1:22
	ds_store_b32 v74, v22 offset:176
	ds_store_2addr_b32 v73, v45, v54 offset1:22
	ds_store_b32 v73, v23 offset:176
	;; [unrolled: 2-line block ×5, first 2 shown]
	v_lshlrev_b32_e32 v20, 5, v79
	v_lshlrev_b32_e32 v42, 5, v64
	global_wb scope:SCOPE_SE
	s_wait_dscnt 0x0
	s_barrier_signal -1
	s_barrier_wait -1
	global_inv scope:SCOPE_SE
	s_clause 0x5
	global_load_b128 v[8:11], v[38:39], off offset:440
	global_load_b128 v[16:19], v20, s[4:5] offset:440
	global_load_b128 v[12:15], v[38:39], off offset:456
	global_load_b128 v[20:23], v20, s[4:5] offset:456
	global_load_b128 v[38:41], v42, s[4:5] offset:440
	global_load_b128 v[42:45], v42, s[4:5] offset:456
	v_lshlrev_b32_e32 v70, 2, v64
	ds_load_2addr_b32 v[64:65], v24 offset0:56 offset1:166
	v_mul_u32_u24_e32 v67, 0x528, v58
	ds_load_2addr_b32 v[58:59], v29 offset0:112 offset1:222
	v_cmp_lt_u32_e64 s0, 0x41, v60
	ds_load_2addr_b32 v[62:63], v27 offset0:40 offset1:150
	ds_load_2addr_b32 v[54:55], v28 offset0:92 offset1:202
	v_mul_u32_u24_e32 v68, 0x528, v82
	ds_load_2addr_b32 v[56:57], v26 offset0:20 offset1:130
	s_wait_alu 0xf1ff
	v_cndmask_b32_e64 v66, 0, 0x528, s0
	v_lshlrev_b32_e32 v69, 2, v79
	v_add3_u32 v70, 0, v68, v70
	s_delay_alu instid0(VALU_DEP_3) | instskip(NEXT) | instid1(VALU_DEP_3)
	v_add3_u32 v2, 0, v66, v2
	v_add3_u32 v71, 0, v67, v69
	ds_load_2addr_b32 v[66:67], v25 offset0:76 offset1:186
	ds_load_2addr_b32 v[68:69], v61 offset1:110
	ds_load_b32 v72, v61 offset:6160
	global_wb scope:SCOPE_SE
	s_wait_loadcnt_dscnt 0x0
	s_barrier_signal -1
	s_barrier_wait -1
	global_inv scope:SCOPE_SE
	v_mul_f32_e32 v74, v56, v11
	v_mul_f32_e32 v78, v64, v17
	;; [unrolled: 1-line block ×8, first 2 shown]
	v_fmac_f32_e32 v39, v65, v38
	v_mul_f32_e32 v83, v58, v41
	v_mul_f32_e32 v41, v46, v41
	v_dual_fmac_f32 v17, v64, v16 :: v_dual_mul_f32 v80, v66, v21
	v_mul_f32_e32 v84, v67, v43
	v_fmac_f32_e32 v13, v59, v12
	s_delay_alu instid0(VALU_DEP_4) | instskip(SKIP_3) | instid1(VALU_DEP_3)
	v_fmac_f32_e32 v41, v58, v40
	v_mul_f32_e32 v23, v49, v23
	v_mul_f32_e32 v11, v30, v11
	v_add_f32_e32 v91, v54, v39
	v_fmac_f32_e32 v23, v63, v22
	v_mul_f32_e32 v73, v55, v9
	v_mul_f32_e32 v9, v5, v9
	v_fmac_f32_e32 v11, v56, v10
	s_delay_alu instid0(VALU_DEP_3) | instskip(NEXT) | instid1(VALU_DEP_3)
	v_fma_f32 v5, v5, v8, -v73
	v_fmac_f32_e32 v9, v55, v8
	v_fma_f32 v8, v30, v10, -v74
	v_dual_mul_f32 v30, v72, v45 :: v_dual_mul_f32 v77, v62, v15
	v_dual_mul_f32 v10, v53, v43 :: v_dual_mul_f32 v43, v75, v45
	v_fma_f32 v45, v47, v12, -v76
	s_delay_alu instid0(VALU_DEP_3)
	v_fma_f32 v30, v75, v44, -v30
	v_mul_f32_e32 v15, v48, v15
	v_mul_f32_e32 v79, v57, v19
	v_fma_f32 v12, v48, v14, -v77
	v_sub_f32_e32 v56, v9, v11
	v_mul_f32_e32 v19, v31, v19
	v_fmac_f32_e32 v15, v62, v14
	v_fma_f32 v14, v50, v16, -v78
	v_fma_f32 v16, v31, v18, -v79
	v_fmac_f32_e32 v10, v67, v42
	v_fmac_f32_e32 v19, v57, v18
	v_fma_f32 v18, v52, v20, -v80
	v_dual_sub_f32 v47, v5, v8 :: v_dual_sub_f32 v48, v12, v45
	v_sub_f32_e32 v50, v8, v5
	v_dual_mul_f32 v21, v52, v21 :: v_dual_add_f32 v62, v7, v14
	v_dual_fmac_f32 v43, v72, v44 :: v_dual_sub_f32 v44, v9, v15
	v_add_f32_e32 v63, v16, v18
	s_delay_alu instid0(VALU_DEP_3)
	v_fmac_f32_e32 v21, v66, v20
	v_dual_sub_f32 v66, v14, v16 :: v_dual_sub_f32 v73, v16, v14
	v_add_f32_e32 v47, v47, v48
	v_sub_f32_e32 v85, v41, v10
	v_dual_sub_f32 v77, v16, v18 :: v_dual_add_f32 v16, v62, v16
	v_fma_f32 v20, v49, v22, -v81
	v_fma_f32 v22, v51, v38, -v82
	v_sub_f32_e32 v51, v45, v12
	v_fma_f32 v31, v46, v40, -v83
	v_fma_f32 v38, v53, v42, -v84
	v_add_f32_e32 v40, v6, v5
	v_sub_f32_e32 v48, v39, v41
	v_dual_add_f32 v50, v50, v51 :: v_dual_sub_f32 v51, v43, v10
	v_add_f32_e32 v42, v8, v45
	v_dual_sub_f32 v55, v8, v45 :: v_dual_add_f32 v58, v9, v15
	v_sub_f32_e32 v86, v22, v31
	v_dual_sub_f32 v87, v30, v38 :: v_dual_add_f32 v8, v40, v8
	v_dual_sub_f32 v40, v31, v38 :: v_dual_add_f32 v49, v5, v12
	;; [unrolled: 1-line block ×3, first 2 shown]
	v_add_f32_e32 v53, v11, v13
	v_add_f32_e32 v52, v68, v9
	v_sub_f32_e32 v74, v18, v20
	v_fma_f32 v42, -0.5, v42, v6
	v_fma_f32 v6, -0.5, v49, v6
	;; [unrolled: 1-line block ×4, first 2 shown]
	v_add_f32_e32 v68, v86, v87
	v_sub_f32_e32 v46, v11, v13
	v_dual_sub_f32 v9, v11, v9 :: v_dual_add_f32 v62, v73, v74
	v_dual_add_f32 v11, v52, v11 :: v_dual_add_f32 v72, v14, v20
	s_delay_alu instid0(VALU_DEP_3)
	v_fmamk_f32 v51, v46, 0xbf737871, v6
	v_fmac_f32_e32 v6, 0x3f737871, v46
	v_add_f32_e32 v92, v41, v10
	v_add_f32_e32 v52, v39, v43
	;; [unrolled: 1-line block ×3, first 2 shown]
	v_fmamk_f32 v45, v44, 0x3f737871, v42
	v_fmac_f32_e32 v42, 0xbf737871, v44
	v_dual_sub_f32 v64, v17, v23 :: v_dual_add_f32 v11, v11, v13
	v_fmac_f32_e32 v6, 0xbf167918, v44
	v_fma_f32 v58, -0.5, v63, v7
	v_add_f32_e32 v82, v4, v22
	v_add_f32_e32 v83, v31, v38
	v_fmac_f32_e32 v7, -0.5, v72
	v_fma_f32 v73, -0.5, v92, v54
	v_dual_fmac_f32 v54, -0.5, v52 :: v_dual_sub_f32 v57, v15, v13
	v_dual_sub_f32 v59, v13, v15 :: v_dual_add_f32 v8, v8, v12
	v_add_f32_e32 v13, v16, v18
	v_fmamk_f32 v16, v64, 0x3f737871, v58
	v_dual_add_f32 v76, v19, v21 :: v_dual_fmac_f32 v51, 0x3f167918, v44
	v_add_f32_e32 v44, v11, v15
	v_dual_fmamk_f32 v52, v5, 0xbf737871, v49 :: v_dual_sub_f32 v65, v19, v21
	v_dual_sub_f32 v67, v20, v18 :: v_dual_add_f32 v80, v17, v23
	v_add_f32_e32 v88, v22, v30
	v_fma_f32 v63, -0.5, v76, v69
	v_fmac_f32_e32 v58, 0xbf737871, v64
	v_sub_f32_e32 v84, v39, v43
	v_fmamk_f32 v18, v65, 0xbf737871, v7
	v_fmamk_f32 v76, v40, 0x3f737871, v54
	v_dual_fmac_f32 v54, 0xbf737871, v40 :: v_dual_add_f32 v9, v9, v59
	v_fmac_f32_e32 v52, 0xbf167918, v55
	v_dual_fmac_f32 v16, 0x3f167918, v65 :: v_dual_add_f32 v59, v66, v67
	v_sub_f32_e32 v89, v31, v22
	v_sub_f32_e32 v22, v22, v30
	v_add_f32_e32 v31, v82, v31
	v_fma_f32 v67, -0.5, v83, v4
	v_dual_fmac_f32 v16, 0x3e9e377a, v59 :: v_dual_add_f32 v75, v69, v17
	v_fmac_f32_e32 v18, 0x3f167918, v64
	v_sub_f32_e32 v90, v38, v30
	v_dual_fmac_f32 v4, -0.5, v88 :: v_dual_add_f32 v31, v31, v38
	v_fmamk_f32 v38, v84, 0x3f737871, v67
	v_fmac_f32_e32 v42, 0xbf167918, v46
	v_dual_fmac_f32 v54, 0x3f167918, v22 :: v_dual_fmac_f32 v69, -0.5, v80
	v_sub_f32_e32 v14, v14, v20
	v_dual_sub_f32 v78, v17, v19 :: v_dual_sub_f32 v17, v19, v17
	v_dual_sub_f32 v81, v21, v23 :: v_dual_fmac_f32 v76, 0xbf167918, v22
	v_dual_add_f32 v19, v75, v19 :: v_dual_fmac_f32 v6, 0x3e9e377a, v50
	v_fmac_f32_e32 v42, 0x3e9e377a, v47
	v_fmamk_f32 v75, v85, 0xbf737871, v4
	v_fmac_f32_e32 v4, 0x3f737871, v85
	v_fmac_f32_e32 v38, 0x3f167918, v85
	v_dual_fmamk_f32 v74, v77, 0x3f737871, v69 :: v_dual_sub_f32 v79, v23, v21
	v_dual_add_f32 v56, v56, v57 :: v_dual_sub_f32 v57, v10, v43
	s_delay_alu instid0(VALU_DEP_3) | instskip(NEXT) | instid1(VALU_DEP_3)
	v_fmac_f32_e32 v38, 0x3e9e377a, v68
	v_fmac_f32_e32 v74, 0xbf167918, v14
	v_dual_fmac_f32 v4, 0xbf167918, v84 :: v_dual_add_f32 v17, v17, v81
	v_sub_f32_e32 v39, v41, v39
	v_add_f32_e32 v41, v91, v41
	v_fmac_f32_e32 v67, 0xbf737871, v84
	v_fmac_f32_e32 v45, 0x3f167918, v46
	;; [unrolled: 1-line block ×3, first 2 shown]
	v_add_f32_e32 v39, v39, v57
	v_fmamk_f32 v57, v55, 0x3f737871, v53
	v_dual_fmac_f32 v53, 0xbf737871, v55 :: v_dual_add_f32 v72, v89, v90
	v_add_f32_e32 v10, v41, v10
	s_delay_alu instid0(VALU_DEP_4)
	v_fmac_f32_e32 v76, 0x3e9e377a, v39
	v_fmac_f32_e32 v7, 0x3f737871, v65
	v_fmac_f32_e32 v54, 0x3e9e377a, v39
	v_fmac_f32_e32 v69, 0xbf737871, v77
	v_fmac_f32_e32 v57, 0xbf167918, v5
	v_fmac_f32_e32 v53, 0x3f167918, v5
	v_dual_fmac_f32 v7, 0xbf167918, v64 :: v_dual_fmac_f32 v58, 0xbf167918, v65
	s_delay_alu instid0(VALU_DEP_4)
	v_fmac_f32_e32 v69, 0x3f167918, v14
	v_fmac_f32_e32 v67, 0xbf167918, v85
	;; [unrolled: 1-line block ×6, first 2 shown]
	v_add_f32_e32 v5, v13, v20
	v_add_f32_e32 v11, v31, v30
	v_fmac_f32_e32 v18, 0x3e9e377a, v62
	v_dual_fmac_f32 v7, 0x3e9e377a, v62 :: v_dual_fmac_f32 v4, 0x3e9e377a, v72
	v_add_f32_e32 v19, v19, v21
	v_fmamk_f32 v21, v14, 0xbf737871, v63
	v_dual_fmac_f32 v63, 0x3f737871, v14 :: v_dual_add_f32 v20, v10, v43
	v_fmac_f32_e32 v57, 0x3e9e377a, v9
	v_dual_fmac_f32 v53, 0x3e9e377a, v9 :: v_dual_fmac_f32 v58, 0x3e9e377a, v59
	v_fmac_f32_e32 v69, 0x3e9e377a, v17
	v_fmac_f32_e32 v67, 0x3e9e377a, v68
	;; [unrolled: 1-line block ×3, first 2 shown]
	ds_store_2addr_b32 v2, v8, v45 offset1:66
	ds_store_2addr_b32 v2, v51, v6 offset0:132 offset1:198
	ds_store_b32 v2, v42 offset:1056
	ds_store_2addr_b32 v71, v5, v16 offset1:66
	ds_store_2addr_b32 v71, v18, v7 offset0:132 offset1:198
	ds_store_b32 v71, v58 offset:1056
	;; [unrolled: 3-line block ×3, first 2 shown]
	global_wb scope:SCOPE_SE
	s_wait_dscnt 0x0
	s_barrier_signal -1
	s_barrier_wait -1
	global_inv scope:SCOPE_SE
	ds_load_2addr_b32 v[4:5], v61 offset1:110
	ds_load_2addr_b32 v[6:7], v28 offset0:92 offset1:202
	ds_load_2addr_b32 v[12:13], v26 offset0:20 offset1:130
	;; [unrolled: 1-line block ×6, first 2 shown]
	ds_load_b32 v18, v61 offset:6160
	v_fmamk_f32 v41, v22, 0xbf737871, v73
	v_fmac_f32_e32 v73, 0x3f737871, v22
	v_fmac_f32_e32 v49, 0x3f167918, v55
	v_dual_add_f32 v66, v78, v79 :: v_dual_fmac_f32 v21, 0xbf167918, v77
	v_fmac_f32_e32 v63, 0x3f167918, v77
	v_fmac_f32_e32 v41, 0xbf167918, v40
	;; [unrolled: 1-line block ×5, first 2 shown]
	v_add_f32_e32 v19, v19, v23
	v_fmac_f32_e32 v21, 0x3e9e377a, v66
	v_fmac_f32_e32 v63, 0x3e9e377a, v66
	;; [unrolled: 1-line block ×4, first 2 shown]
	global_wb scope:SCOPE_SE
	s_wait_dscnt 0x0
	s_barrier_signal -1
	s_barrier_wait -1
	global_inv scope:SCOPE_SE
	ds_store_2addr_b32 v2, v44, v52 offset1:66
	ds_store_2addr_b32 v2, v57, v53 offset0:132 offset1:198
	ds_store_b32 v2, v49 offset:1056
	ds_store_2addr_b32 v71, v19, v21 offset1:66
	ds_store_2addr_b32 v71, v74, v69 offset0:132 offset1:198
	ds_store_b32 v71, v63 offset:1056
	;; [unrolled: 3-line block ×3, first 2 shown]
	global_wb scope:SCOPE_SE
	s_wait_dscnt 0x0
	s_barrier_signal -1
	s_barrier_wait -1
	global_inv scope:SCOPE_SE
	s_and_saveexec_b32 s0, vcc_lo
	s_cbranch_execz .LBB0_27
; %bb.26:
	v_mad_co_u64_u32 v[50:51], null, s8, v60, 0
	v_lshlrev_b32_e32 v2, 2, v33
	v_mad_co_u64_u32 v[52:53], null, s8, v35, 0
	v_mad_co_u64_u32 v[54:55], null, s8, v37, 0
	s_delay_alu instid0(VALU_DEP_3)
	v_lshlrev_b64_e32 v[19:20], 3, v[2:3]
	v_lshlrev_b32_e32 v2, 2, v32
	v_add_nc_u32_e32 v79, 0x3de, v60
	v_add_nc_u32_e32 v84, 0x44c, v60
	;; [unrolled: 1-line block ×3, first 2 shown]
	v_mad_co_u64_u32 v[58:59], null, s8, v34, 0
	v_add_co_u32 v23, vcc_lo, s4, v19
	s_wait_alu 0xfffd
	v_add_co_ci_u32_e32 v24, vcc_lo, s5, v20, vcc_lo
	v_lshlrev_b64_e32 v[27:28], 3, v[2:3]
	v_lshlrev_b32_e32 v2, 2, v60
	s_clause 0x1
	global_load_b128 v[19:22], v[23:24], off offset:2552
	global_load_b128 v[23:26], v[23:24], off offset:2568
	v_mad_co_u64_u32 v[69:70], null, s8, v79, 0
	v_lshlrev_b64_e32 v[2:3], 3, v[2:3]
	v_add_co_u32 v38, vcc_lo, s4, v27
	s_wait_alu 0xfffd
	v_add_co_ci_u32_e32 v39, vcc_lo, s5, v28, vcc_lo
	s_clause 0x1
	global_load_b128 v[27:30], v[38:39], off offset:2552
	global_load_b128 v[38:41], v[38:39], off offset:2568
	v_add_co_u32 v2, vcc_lo, s4, v2
	s_wait_alu 0xfffd
	v_add_co_ci_u32_e32 v3, vcc_lo, s5, v3, vcc_lo
	s_clause 0x1
	global_load_b128 v[42:45], v[2:3], off offset:2552
	global_load_b128 v[46:49], v[2:3], off offset:2568
	v_add_nc_u32_e32 v31, 0x600, v61
	v_mad_co_u64_u32 v[73:74], null, s8, v84, 0
	v_add_nc_u32_e32 v65, 0xc00, v61
	v_mad_co_u64_u32 v[56:57], null, s8, v32, 0
	ds_load_b32 v85, v61 offset:6160
	ds_load_2addr_b32 v[2:3], v61 offset1:110
	v_add_nc_u32_e32 v82, 0x528, v60
	v_mul_hi_u32 v78, 0x634c0635, v33
	ds_load_2addr_b32 v[63:64], v31 offset0:56 offset1:166
	ds_load_2addr_b32 v[65:66], v65 offset0:112 offset1:222
	;; [unrolled: 1-line block ×3, first 2 shown]
	v_mov_b32_e32 v31, v51
	v_mov_b32_e32 v51, v53
	v_dual_mov_b32 v53, v55 :: v_dual_add_nc_u32 v80, 0x200, v61
	v_mov_b32_e32 v55, v57
	s_delay_alu instid0(VALU_DEP_4)
	v_mad_co_u64_u32 v[75:76], null, s9, v60, v[31:32]
	v_mov_b32_e32 v31, v59
	v_mad_co_u64_u32 v[71:72], null, s8, v82, 0
	v_mad_co_u64_u32 v[76:77], null, s9, v37, v[53:54]
	v_lshrrev_b32_e32 v37, 7, v78
	v_mad_co_u64_u32 v[77:78], null, s9, v32, v[55:56]
	v_mad_co_u64_u32 v[31:32], null, s9, v34, v[31:32]
	v_mov_b32_e32 v32, v70
	s_delay_alu instid0(VALU_DEP_4)
	v_mad_u32_u24 v87, 0x528, v37, v33
	v_mov_b32_e32 v33, v72
	v_add_nc_u32_e32 v83, 0x1400, v61
	v_add_nc_u32_e32 v86, 0x596, v60
	v_mad_co_u64_u32 v[59:60], null, s9, v35, v[51:52]
	v_mov_b32_e32 v51, v75
	v_mad_co_u64_u32 v[78:79], null, s9, v79, v[32:33]
	v_add_nc_u32_e32 v81, 0xa00, v61
	v_mad_co_u64_u32 v[61:62], null, s8, v36, 0
	v_dual_mov_b32 v32, v74 :: v_dual_mov_b32 v55, v76
	ds_load_2addr_b32 v[79:80], v80 offset0:92 offset1:202
	v_dual_mov_b32 v70, v78 :: v_dual_mov_b32 v53, v59
	v_mov_b32_e32 v57, v77
	v_mov_b32_e32 v35, v62
	;; [unrolled: 1-line block ×3, first 2 shown]
	v_add_nc_u32_e32 v77, 0x14a, v87
	v_add_co_u32 v0, vcc_lo, s10, v0
	s_delay_alu instid0(VALU_DEP_4) | instskip(SKIP_3) | instid1(VALU_DEP_3)
	v_mad_co_u64_u32 v[34:35], null, s9, v36, v[35:36]
	v_mad_co_u64_u32 v[35:36], null, s8, v86, 0
	s_wait_alu 0xfffd
	v_add_co_ci_u32_e32 v1, vcc_lo, s11, v1, vcc_lo
	v_mad_co_u64_u32 v[74:75], null, s9, v82, v[33:34]
	ds_load_2addr_b32 v[81:82], v81 offset0:20 offset1:130
	v_dual_mov_b32 v33, v36 :: v_dual_mov_b32 v62, v34
	v_mov_b32_e32 v72, v74
	ds_load_2addr_b32 v[75:76], v83 offset0:40 offset1:150
	v_mad_co_u64_u32 v[36:37], null, s9, v84, v[32:33]
	v_mad_co_u64_u32 v[32:33], null, s9, v86, v[33:34]
	v_lshlrev_b64_e32 v[33:34], 3, v[50:51]
	v_lshlrev_b64_e32 v[50:51], 3, v[52:53]
	;; [unrolled: 1-line block ×7, first 2 shown]
	v_mov_b32_e32 v74, v36
	v_mov_b32_e32 v36, v32
	v_lshlrev_b64_e32 v[31:32], 3, v[69:70]
	v_add_co_u32 v33, vcc_lo, v0, v33
	s_delay_alu instid0(VALU_DEP_4)
	v_lshlrev_b64_e32 v[69:70], 3, v[73:74]
	s_wait_alu 0xfffd
	v_add_co_ci_u32_e32 v34, vcc_lo, v1, v34, vcc_lo
	v_add_co_u32 v50, vcc_lo, v0, v50
	s_wait_alu 0xfffd
	v_add_co_ci_u32_e32 v51, vcc_lo, v1, v51, vcc_lo
	v_add_co_u32 v52, vcc_lo, v0, v52
	;; [unrolled: 3-line block ×4, first 2 shown]
	v_mad_co_u64_u32 v[83:84], null, s8, v87, 0
	s_wait_alu 0xfffd
	v_add_co_ci_u32_e32 v57, vcc_lo, v1, v57, vcc_lo
	v_add_co_u32 v58, vcc_lo, v0, v58
	s_wait_alu 0xfffd
	v_add_co_ci_u32_e32 v59, vcc_lo, v1, v59, vcc_lo
	v_add_co_u32 v31, vcc_lo, v0, v31
	s_wait_alu 0xfffd
	v_add_co_ci_u32_e32 v32, vcc_lo, v1, v32, vcc_lo
	v_add_co_u32 v60, vcc_lo, v0, v60
	s_wait_alu 0xfffd
	v_add_co_ci_u32_e32 v61, vcc_lo, v1, v61, vcc_lo
	v_add_co_u32 v69, vcc_lo, v0, v69
	s_wait_alu 0xfffd
	v_add_co_ci_u32_e32 v70, vcc_lo, v1, v70, vcc_lo
	s_wait_loadcnt 0x5
	v_mul_f32_e32 v62, v10, v22
	s_wait_dscnt 0x4
	v_mul_f32_e32 v22, v65, v22
	s_wait_loadcnt 0x4
	v_dual_mul_f32 v71, v18, v26 :: v_dual_mul_f32 v72, v15, v24
	v_mul_f32_e32 v37, v17, v20
	s_wait_dscnt 0x3
	v_mul_f32_e32 v24, v68, v24
	v_mul_f32_e32 v20, v64, v20
	;; [unrolled: 1-line block ×3, first 2 shown]
	v_fmac_f32_e32 v72, v68, v23
	v_dual_fmac_f32 v37, v64, v19 :: v_dual_fmac_f32 v62, v65, v21
	v_fmac_f32_e32 v71, v85, v25
	v_fma_f32 v21, v10, v21, -v22
	v_fma_f32 v15, v15, v23, -v24
	;; [unrolled: 1-line block ×4, first 2 shown]
	s_wait_loadcnt 0x3
	v_mul_f32_e32 v18, v63, v28
	v_dual_mul_f32 v20, v13, v30 :: v_dual_mul_f32 v17, v16, v28
	s_wait_loadcnt 0x2
	v_dual_mul_f32 v64, v9, v41 :: v_dual_mul_f32 v25, v14, v39
	s_wait_dscnt 0x0
	v_dual_mul_f32 v22, v76, v41 :: v_dual_mul_f32 v23, v82, v30
	v_mul_f32_e32 v24, v67, v39
	v_dual_sub_f32 v26, v37, v62 :: v_dual_sub_f32 v39, v10, v19
	v_dual_sub_f32 v28, v71, v72 :: v_dual_sub_f32 v65, v10, v21
	v_dual_sub_f32 v30, v21, v15 :: v_dual_add_f32 v41, v62, v72
	v_dual_fmac_f32 v17, v63, v27 :: v_dual_fmac_f32 v20, v82, v29
	v_dual_sub_f32 v63, v19, v15 :: v_dual_sub_f32 v74, v21, v10
	v_dual_add_f32 v68, v21, v15 :: v_dual_sub_f32 v73, v62, v72
	v_fma_f32 v16, v16, v27, -v18
	v_dual_sub_f32 v27, v37, v71 :: v_dual_add_f32 v82, v6, v10
	v_fma_f32 v23, v13, v29, -v23
	v_dual_sub_f32 v13, v62, v37 :: v_dual_sub_f32 v18, v72, v71
	v_dual_add_f32 v29, v37, v71 :: v_dual_fmac_f32 v64, v76, v40
	v_dual_fmac_f32 v25, v67, v38 :: v_dual_add_f32 v78, v10, v19
	s_wait_loadcnt 0x1
	v_dual_sub_f32 v67, v15, v19 :: v_dual_mul_f32 v76, v12, v45
	v_dual_add_f32 v37, v37, v79 :: v_dual_add_f32 v28, v26, v28
	v_fma_f32 v40, v9, v40, -v22
	v_fma_f32 v38, v14, v38, -v24
	s_wait_loadcnt 0x0
	v_mul_f32_e32 v86, v11, v47
	v_dual_mul_f32 v24, v81, v45 :: v_dual_mul_f32 v45, v66, v47
	v_mul_f32_e32 v26, v80, v43
	v_fma_f32 v10, -0.5, v41, v79
	v_mul_f32_e32 v41, v75, v49
	v_dual_mul_f32 v22, v7, v43 :: v_dual_mul_f32 v85, v8, v49
	v_add_f32_e32 v43, v65, v63
	v_fma_f32 v9, -0.5, v68, v6
	v_dual_add_f32 v47, v13, v18 :: v_dual_add_f32 v18, v62, v37
	v_fma_f32 v14, -0.5, v29, v79
	v_dual_add_f32 v29, v74, v67 :: v_dual_sub_f32 v62, v16, v40
	v_fma_f32 v13, -0.5, v78, v6
	v_dual_add_f32 v21, v82, v21 :: v_dual_fmac_f32 v22, v80, v42
	v_dual_sub_f32 v37, v20, v17 :: v_dual_fmac_f32 v76, v81, v44
	v_dual_sub_f32 v49, v25, v64 :: v_dual_fmac_f32 v86, v66, v46
	v_add_f32_e32 v63, v17, v64
	v_dual_sub_f32 v65, v23, v38 :: v_dual_sub_f32 v68, v38, v40
	v_dual_sub_f32 v67, v23, v16 :: v_dual_sub_f32 v80, v16, v23
	;; [unrolled: 1-line block ×3, first 2 shown]
	v_fma_f32 v44, v12, v44, -v24
	v_add_f32_e32 v24, v20, v25
	v_fma_f32 v45, v11, v46, -v45
	v_add_f32_e32 v82, v17, v3
	v_fma_f32 v26, v7, v42, -v26
	v_fmamk_f32 v7, v39, 0x3f737871, v10
	v_fma_f32 v8, v8, v48, -v41
	v_dual_add_f32 v74, v16, v40 :: v_dual_add_f32 v81, v23, v38
	v_dual_fmac_f32 v85, v75, v48 :: v_dual_sub_f32 v46, v40, v38
	v_add_f32_e32 v88, v5, v16
	v_dual_fmamk_f32 v6, v27, 0xbf737871, v9 :: v_dual_add_f32 v41, v72, v18
	v_fmamk_f32 v11, v73, 0x3f737871, v13
	v_dual_fmac_f32 v13, 0xbf737871, v73 :: v_dual_fmac_f32 v10, 0xbf737871, v39
	v_add_f32_e32 v37, v37, v49
	v_dual_fmac_f32 v9, 0x3f737871, v27 :: v_dual_add_f32 v42, v67, v68
	v_fma_f32 v16, -0.5, v63, v3
	v_add_f32_e32 v48, v66, v79
	v_fma_f32 v18, -0.5, v24, v3
	v_add_f32_e32 v3, v20, v82
	v_dual_sub_f32 v67, v26, v8 :: v_dual_add_f32 v68, v76, v86
	v_dual_add_f32 v79, v44, v45 :: v_dual_add_f32 v92, v26, v8
	v_dual_sub_f32 v75, v20, v25 :: v_dual_sub_f32 v78, v17, v64
	v_dual_fmamk_f32 v12, v30, 0xbf737871, v14 :: v_dual_add_f32 v21, v21, v15
	v_fmac_f32_e32 v14, 0x3f737871, v30
	v_fma_f32 v15, -0.5, v74, v5
	v_add_f32_e32 v46, v80, v46
	v_fma_f32 v17, -0.5, v81, v5
	v_add_f32_e32 v5, v23, v88
	v_dual_sub_f32 v63, v85, v86 :: v_dual_sub_f32 v72, v26, v44
	v_dual_sub_f32 v74, v8, v45 :: v_dual_sub_f32 v91, v45, v8
	v_dual_sub_f32 v82, v76, v22 :: v_dual_add_f32 v89, v22, v85
	v_dual_add_f32 v94, v4, v26 :: v_dual_fmac_f32 v13, 0x3f167918, v27
	v_dual_sub_f32 v49, v22, v76 :: v_dual_sub_f32 v66, v44, v45
	v_dual_sub_f32 v90, v44, v26 :: v_dual_fmac_f32 v11, 0xbf167918, v27
	v_dual_add_f32 v93, v22, v2 :: v_dual_fmac_f32 v6, 0xbf167918, v73
	v_dual_sub_f32 v80, v22, v85 :: v_dual_sub_f32 v81, v76, v86
	v_dual_sub_f32 v88, v86, v85 :: v_dual_fmac_f32 v7, 0x3f167918, v30
	v_dual_fmac_f32 v10, 0xbf167918, v30 :: v_dual_add_f32 v27, v25, v3
	v_fma_f32 v26, -0.5, v68, v2
	v_fma_f32 v25, -0.5, v79, v4
	v_dual_fmac_f32 v12, 0x3f167918, v39 :: v_dual_fmac_f32 v9, 0x3f167918, v73
	v_dual_fmac_f32 v14, 0xbf167918, v39 :: v_dual_add_f32 v19, v19, v21
	v_dual_add_f32 v20, v71, v41 :: v_dual_fmamk_f32 v23, v78, 0x3f737871, v17
	v_dual_fmamk_f32 v21, v75, 0x3f737871, v15 :: v_dual_add_f32 v30, v5, v38
	v_dual_add_f32 v41, v72, v74 :: v_dual_add_f32 v44, v94, v44
	v_fma_f32 v3, -0.5, v89, v2
	v_fma_f32 v2, -0.5, v92, v4
	v_dual_fmamk_f32 v22, v65, 0xbf737871, v16 :: v_dual_fmac_f32 v15, 0xbf737871, v75
	v_dual_fmac_f32 v16, 0x3f737871, v65 :: v_dual_add_f32 v39, v49, v63
	v_dual_add_f32 v63, v90, v91 :: v_dual_add_f32 v38, v76, v93
	v_dual_fmac_f32 v7, 0x3e9e377a, v28 :: v_dual_fmac_f32 v6, 0x3e9e377a, v43
	v_dual_fmac_f32 v10, 0x3e9e377a, v28 :: v_dual_fmac_f32 v9, 0x3e9e377a, v43
	v_dual_add_f32 v5, v64, v27 :: v_dual_add_f32 v4, v30, v40
	v_fmamk_f32 v28, v67, 0x3f737871, v26
	v_dual_fmamk_f32 v27, v80, 0xbf737871, v25 :: v_dual_fmac_f32 v26, 0xbf737871, v67
	v_dual_fmac_f32 v25, 0x3f737871, v80 :: v_dual_add_f32 v40, v44, v45
	v_dual_fmac_f32 v12, 0x3e9e377a, v47 :: v_dual_fmac_f32 v11, 0x3e9e377a, v29
	v_dual_fmac_f32 v14, 0x3e9e377a, v47 :: v_dual_fmac_f32 v13, 0x3e9e377a, v29
	v_fmamk_f32 v30, v66, 0xbf737871, v3
	v_dual_fmamk_f32 v29, v81, 0x3f737871, v2 :: v_dual_add_f32 v38, v86, v38
	v_fmac_f32_e32 v3, 0x3f737871, v66
	v_fmac_f32_e32 v2, 0xbf737871, v81
	v_dual_fmamk_f32 v24, v62, 0xbf737871, v18 :: v_dual_fmac_f32 v17, 0xbf737871, v78
	v_dual_fmac_f32 v18, 0x3f737871, v62 :: v_dual_add_f32 v49, v82, v88
	v_dual_fmac_f32 v22, 0x3f167918, v62 :: v_dual_fmac_f32 v23, 0x3f167918, v75
	s_delay_alu instid0(VALU_DEP_3)
	v_dual_fmac_f32 v16, 0xbf167918, v62 :: v_dual_fmac_f32 v17, 0xbf167918, v75
	v_dual_fmac_f32 v28, 0x3f167918, v66 :: v_dual_fmac_f32 v25, 0x3f167918, v81
	;; [unrolled: 1-line block ×3, first 2 shown]
	v_fmac_f32_e32 v3, 0xbf167918, v67
	v_fmac_f32_e32 v2, 0x3f167918, v80
	v_dual_fmac_f32 v21, 0xbf167918, v78 :: v_dual_fmac_f32 v24, 0xbf167918, v65
	v_dual_fmac_f32 v18, 0x3f167918, v65 :: v_dual_fmac_f32 v15, 0x3f167918, v78
	s_delay_alu instid0(VALU_DEP_2)
	v_dual_fmac_f32 v22, 0x3e9e377a, v37 :: v_dual_fmac_f32 v21, 0x3e9e377a, v42
	v_fmac_f32_e32 v16, 0x3e9e377a, v37
	v_dual_fmac_f32 v29, 0xbf167918, v80 :: v_dual_add_f32 v38, v85, v38
	v_dual_add_f32 v37, v8, v40 :: v_dual_fmac_f32 v30, 0x3f167918, v67
	v_mov_b32_e32 v8, v84
	v_dual_fmac_f32 v26, 0x3e9e377a, v39 :: v_dual_fmac_f32 v25, 0x3e9e377a, v41
	v_dual_fmac_f32 v28, 0x3e9e377a, v39 :: v_dual_fmac_f32 v3, 0x3e9e377a, v49
	v_dual_fmac_f32 v2, 0x3e9e377a, v63 :: v_dual_fmac_f32 v27, 0x3e9e377a, v41
	v_dual_fmac_f32 v30, 0x3e9e377a, v49 :: v_dual_fmac_f32 v29, 0x3e9e377a, v63
	v_dual_fmac_f32 v24, 0x3e9e377a, v48 :: v_dual_fmac_f32 v23, 0x3e9e377a, v46
	v_fmac_f32_e32 v15, 0x3e9e377a, v42
	s_clause 0x8
	global_store_b64 v[33:34], v[37:38], off
	global_store_b64 v[50:51], v[25:26], off
	;; [unrolled: 1-line block ×9, first 2 shown]
	v_mad_co_u64_u32 v[21:22], null, s9, v87, v[8:9]
	v_add_nc_u32_e32 v25, 0x294, v87
	v_mad_co_u64_u32 v[4:5], null, s8, v77, 0
	v_lshlrev_b64_e32 v[2:3], 3, v[35:36]
	v_add_nc_u32_e32 v8, 0x3de, v87
	v_add_nc_u32_e32 v28, 0x528, v87
	v_mov_b32_e32 v84, v21
	v_mad_co_u64_u32 v[15:16], null, s8, v25, 0
	v_mad_co_u64_u32 v[22:23], null, s9, v77, v[5:6]
	;; [unrolled: 1-line block ×3, first 2 shown]
	v_add_co_u32 v2, vcc_lo, v0, v2
	s_delay_alu instid0(VALU_DEP_4) | instskip(SKIP_3) | instid1(VALU_DEP_3)
	v_dual_mov_b32 v5, v16 :: v_dual_fmac_f32 v18, 0x3e9e377a, v48
	v_fmac_f32_e32 v17, 0x3e9e377a, v46
	s_wait_alu 0xfffd
	v_add_co_ci_u32_e32 v3, vcc_lo, v1, v3, vcc_lo
	v_mad_co_u64_u32 v[25:26], null, s9, v25, v[5:6]
	v_mad_co_u64_u32 v[26:27], null, s8, v28, 0
	global_store_b64 v[2:3], v[17:18], off
	v_dual_mov_b32 v2, v24 :: v_dual_mov_b32 v5, v22
	v_lshlrev_b64_e32 v[17:18], 3, v[83:84]
	v_mov_b32_e32 v16, v25
	s_delay_alu instid0(VALU_DEP_3) | instskip(NEXT) | instid1(VALU_DEP_4)
	v_mad_co_u64_u32 v[2:3], null, s9, v8, v[2:3]
	v_lshlrev_b64_e32 v[4:5], 3, v[4:5]
	v_mov_b32_e32 v3, v27
	v_add_co_u32 v17, vcc_lo, v0, v17
	s_wait_alu 0xfffd
	v_add_co_ci_u32_e32 v18, vcc_lo, v1, v18, vcc_lo
	s_delay_alu instid0(VALU_DEP_3)
	v_mad_co_u64_u32 v[21:22], null, s9, v28, v[3:4]
	v_mov_b32_e32 v24, v2
	v_lshlrev_b64_e32 v[15:16], 3, v[15:16]
	v_add_co_u32 v2, vcc_lo, v0, v4
	s_wait_alu 0xfffd
	v_add_co_ci_u32_e32 v3, vcc_lo, v1, v5, vcc_lo
	v_mov_b32_e32 v27, v21
	v_lshlrev_b64_e32 v[4:5], 3, v[23:24]
	v_add_co_u32 v15, vcc_lo, v0, v15
	s_wait_alu 0xfffd
	v_add_co_ci_u32_e32 v16, vcc_lo, v1, v16, vcc_lo
	v_lshlrev_b64_e32 v[21:22], 3, v[26:27]
	s_delay_alu instid0(VALU_DEP_4) | instskip(SKIP_2) | instid1(VALU_DEP_3)
	v_add_co_u32 v4, vcc_lo, v0, v4
	s_wait_alu 0xfffd
	v_add_co_ci_u32_e32 v5, vcc_lo, v1, v5, vcc_lo
	v_add_co_u32 v0, vcc_lo, v0, v21
	s_wait_alu 0xfffd
	v_add_co_ci_u32_e32 v1, vcc_lo, v1, v22, vcc_lo
	s_clause 0x4
	global_store_b64 v[17:18], v[19:20], off
	global_store_b64 v[2:3], v[9:10], off
	;; [unrolled: 1-line block ×5, first 2 shown]
.LBB0_27:
	s_nop 0
	s_sendmsg sendmsg(MSG_DEALLOC_VGPRS)
	s_endpgm
	.section	.rodata,"a",@progbits
	.p2align	6, 0x0
	.amdhsa_kernel fft_rtc_fwd_len1650_factors_11_2_3_5_5_wgs_110_tpt_110_halfLds_sp_ip_CI_sbrr_dirReg
		.amdhsa_group_segment_fixed_size 0
		.amdhsa_private_segment_fixed_size 0
		.amdhsa_kernarg_size 88
		.amdhsa_user_sgpr_count 2
		.amdhsa_user_sgpr_dispatch_ptr 0
		.amdhsa_user_sgpr_queue_ptr 0
		.amdhsa_user_sgpr_kernarg_segment_ptr 1
		.amdhsa_user_sgpr_dispatch_id 0
		.amdhsa_user_sgpr_private_segment_size 0
		.amdhsa_wavefront_size32 1
		.amdhsa_uses_dynamic_stack 0
		.amdhsa_enable_private_segment 0
		.amdhsa_system_sgpr_workgroup_id_x 1
		.amdhsa_system_sgpr_workgroup_id_y 0
		.amdhsa_system_sgpr_workgroup_id_z 0
		.amdhsa_system_sgpr_workgroup_info 0
		.amdhsa_system_vgpr_workitem_id 0
		.amdhsa_next_free_vgpr 95
		.amdhsa_next_free_sgpr 35
		.amdhsa_reserve_vcc 1
		.amdhsa_float_round_mode_32 0
		.amdhsa_float_round_mode_16_64 0
		.amdhsa_float_denorm_mode_32 3
		.amdhsa_float_denorm_mode_16_64 3
		.amdhsa_fp16_overflow 0
		.amdhsa_workgroup_processor_mode 1
		.amdhsa_memory_ordered 1
		.amdhsa_forward_progress 0
		.amdhsa_round_robin_scheduling 0
		.amdhsa_exception_fp_ieee_invalid_op 0
		.amdhsa_exception_fp_denorm_src 0
		.amdhsa_exception_fp_ieee_div_zero 0
		.amdhsa_exception_fp_ieee_overflow 0
		.amdhsa_exception_fp_ieee_underflow 0
		.amdhsa_exception_fp_ieee_inexact 0
		.amdhsa_exception_int_div_zero 0
	.end_amdhsa_kernel
	.text
.Lfunc_end0:
	.size	fft_rtc_fwd_len1650_factors_11_2_3_5_5_wgs_110_tpt_110_halfLds_sp_ip_CI_sbrr_dirReg, .Lfunc_end0-fft_rtc_fwd_len1650_factors_11_2_3_5_5_wgs_110_tpt_110_halfLds_sp_ip_CI_sbrr_dirReg
                                        ; -- End function
	.section	.AMDGPU.csdata,"",@progbits
; Kernel info:
; codeLenInByte = 15428
; NumSgprs: 37
; NumVgprs: 95
; ScratchSize: 0
; MemoryBound: 0
; FloatMode: 240
; IeeeMode: 1
; LDSByteSize: 0 bytes/workgroup (compile time only)
; SGPRBlocks: 4
; VGPRBlocks: 11
; NumSGPRsForWavesPerEU: 37
; NumVGPRsForWavesPerEU: 95
; Occupancy: 16
; WaveLimiterHint : 1
; COMPUTE_PGM_RSRC2:SCRATCH_EN: 0
; COMPUTE_PGM_RSRC2:USER_SGPR: 2
; COMPUTE_PGM_RSRC2:TRAP_HANDLER: 0
; COMPUTE_PGM_RSRC2:TGID_X_EN: 1
; COMPUTE_PGM_RSRC2:TGID_Y_EN: 0
; COMPUTE_PGM_RSRC2:TGID_Z_EN: 0
; COMPUTE_PGM_RSRC2:TIDIG_COMP_CNT: 0
	.text
	.p2alignl 7, 3214868480
	.fill 96, 4, 3214868480
	.type	__hip_cuid_d6710db17ab5bc14,@object ; @__hip_cuid_d6710db17ab5bc14
	.section	.bss,"aw",@nobits
	.globl	__hip_cuid_d6710db17ab5bc14
__hip_cuid_d6710db17ab5bc14:
	.byte	0                               ; 0x0
	.size	__hip_cuid_d6710db17ab5bc14, 1

	.ident	"AMD clang version 19.0.0git (https://github.com/RadeonOpenCompute/llvm-project roc-6.4.0 25133 c7fe45cf4b819c5991fe208aaa96edf142730f1d)"
	.section	".note.GNU-stack","",@progbits
	.addrsig
	.addrsig_sym __hip_cuid_d6710db17ab5bc14
	.amdgpu_metadata
---
amdhsa.kernels:
  - .args:
      - .actual_access:  read_only
        .address_space:  global
        .offset:         0
        .size:           8
        .value_kind:     global_buffer
      - .offset:         8
        .size:           8
        .value_kind:     by_value
      - .actual_access:  read_only
        .address_space:  global
        .offset:         16
        .size:           8
        .value_kind:     global_buffer
      - .actual_access:  read_only
        .address_space:  global
        .offset:         24
        .size:           8
        .value_kind:     global_buffer
      - .offset:         32
        .size:           8
        .value_kind:     by_value
      - .actual_access:  read_only
        .address_space:  global
        .offset:         40
        .size:           8
        .value_kind:     global_buffer
      - .actual_access:  read_only
        .address_space:  global
        .offset:         48
        .size:           8
        .value_kind:     global_buffer
      - .offset:         56
        .size:           4
        .value_kind:     by_value
      - .actual_access:  read_only
        .address_space:  global
        .offset:         64
        .size:           8
        .value_kind:     global_buffer
      - .actual_access:  read_only
        .address_space:  global
        .offset:         72
        .size:           8
        .value_kind:     global_buffer
      - .address_space:  global
        .offset:         80
        .size:           8
        .value_kind:     global_buffer
    .group_segment_fixed_size: 0
    .kernarg_segment_align: 8
    .kernarg_segment_size: 88
    .language:       OpenCL C
    .language_version:
      - 2
      - 0
    .max_flat_workgroup_size: 110
    .name:           fft_rtc_fwd_len1650_factors_11_2_3_5_5_wgs_110_tpt_110_halfLds_sp_ip_CI_sbrr_dirReg
    .private_segment_fixed_size: 0
    .sgpr_count:     37
    .sgpr_spill_count: 0
    .symbol:         fft_rtc_fwd_len1650_factors_11_2_3_5_5_wgs_110_tpt_110_halfLds_sp_ip_CI_sbrr_dirReg.kd
    .uniform_work_group_size: 1
    .uses_dynamic_stack: false
    .vgpr_count:     95
    .vgpr_spill_count: 0
    .wavefront_size: 32
    .workgroup_processor_mode: 1
amdhsa.target:   amdgcn-amd-amdhsa--gfx1201
amdhsa.version:
  - 1
  - 2
...

	.end_amdgpu_metadata
